;; amdgpu-corpus repo=ROCm/rocFFT kind=compiled arch=gfx950 opt=O3
	.text
	.amdgcn_target "amdgcn-amd-amdhsa--gfx950"
	.amdhsa_code_object_version 6
	.protected	bluestein_single_fwd_len4000_dim1_sp_op_CI_CI ; -- Begin function bluestein_single_fwd_len4000_dim1_sp_op_CI_CI
	.globl	bluestein_single_fwd_len4000_dim1_sp_op_CI_CI
	.p2align	8
	.type	bluestein_single_fwd_len4000_dim1_sp_op_CI_CI,@function
bluestein_single_fwd_len4000_dim1_sp_op_CI_CI: ; @bluestein_single_fwd_len4000_dim1_sp_op_CI_CI
; %bb.0:
	s_load_dwordx4 s[16:19], s[0:1], 0x28
	v_mul_u32_u24_e32 v1, 0x148, v0
	v_add_u32_sdwa v130, s2, v1 dst_sel:DWORD dst_unused:UNUSED_PAD src0_sel:DWORD src1_sel:WORD_1
	v_mov_b32_e32 v131, 0
	s_waitcnt lgkmcnt(0)
	v_cmp_gt_u64_e32 vcc, s[16:17], v[130:131]
	s_and_saveexec_b64 s[2:3], vcc
	s_cbranch_execz .LBB0_2
; %bb.1:
	s_load_dwordx4 s[12:15], s[0:1], 0x18
	s_load_dwordx4 s[8:11], s[0:1], 0x0
	v_mov_b32_e32 v2, s18
	v_mov_b32_e32 v3, s19
	s_movk_i32 s21, 0x1000
	s_waitcnt lgkmcnt(0)
	s_load_dwordx4 s[4:7], s[14:15], 0x0
	s_movk_i32 s22, 0x3000
	s_load_dwordx4 s[12:15], s[12:13], 0x0
	s_movk_i32 s23, 0x5000
	s_movk_i32 s20, 0x6000
	s_waitcnt lgkmcnt(0)
	v_mad_u64_u32 v[8:9], s[2:3], s6, v130, 0
	v_mad_u64_u32 v[4:5], s[2:3], s14, v130, 0
	v_mov_b32_e32 v6, v9
	v_mad_u64_u32 v[140:141], s[2:3], s7, v130, v[6:7]
	v_mov_b32_e32 v6, v5
	v_mad_u64_u32 v[6:7], s[2:3], s15, v130, v[6:7]
	s_movk_i32 s2, 0xc8
	s_nop 0
	v_mul_lo_u16_sdwa v1, v1, s2 dst_sel:DWORD dst_unused:UNUSED_PAD src0_sel:WORD_1 src1_sel:DWORD
	v_sub_u16_e32 v128, v0, v1
	v_mad_u64_u32 v[0:1], s[2:3], s12, v128, 0
	v_mov_b32_e32 v5, v6
	v_mov_b32_e32 v6, v1
	v_mad_u64_u32 v[6:7], s[2:3], s13, v128, v[6:7]
	v_mov_b32_e32 v1, v6
	v_lshl_add_u64 v[2:3], v[4:5], 3, v[2:3]
	v_lshl_add_u64 v[0:1], v[0:1], 3, v[2:3]
	v_mov_b32_e32 v141, 0xc80
	global_load_dwordx2 v[2:3], v[0:1], off
	v_mad_u64_u32 v[0:1], s[2:3], s12, v141, v[0:1]
	v_lshlrev_b32_e32 v130, 3, v128
	s_mul_i32 s2, s13, 0xc80
	v_lshl_add_u64 v[84:85], s[8:9], 0, v[130:131]
	global_load_dwordx2 v[144:145], v130, s[8:9]
	v_add_u32_e32 v1, s2, v1
	global_load_dwordx2 v[4:5], v[0:1], off
	global_load_dwordx2 v[138:139], v130, s[8:9] offset:3200
	v_add_co_u32_e32 v6, vcc, s21, v84
	v_mad_u64_u32 v[0:1], s[6:7], s12, v141, v[0:1]
	s_nop 0
	v_addc_co_u32_e32 v7, vcc, 0, v85, vcc
	v_accvgpr_write_b32 a0, v8
	v_add_u32_e32 v1, s2, v1
	global_load_dwordx2 v[136:137], v[6:7], off offset:2304
	global_load_dwordx2 v[8:9], v[0:1], off
	s_movk_i32 s6, 0x2000
	v_add_co_u32_e32 v10, vcc, s6, v84
	s_movk_i32 s3, 0x4000
	s_nop 0
	v_addc_co_u32_e32 v11, vcc, 0, v85, vcc
	v_add_co_u32_e32 v12, vcc, s22, v84
	v_mad_u64_u32 v[0:1], s[6:7], s12, v141, v[0:1]
	s_nop 0
	v_addc_co_u32_e32 v13, vcc, 0, v85, vcc
	v_add_co_u32_e32 v14, vcc, s3, v84
	v_add_u32_e32 v1, s2, v1
	global_load_dwordx2 v[188:189], v130, s[8:9] offset:1600
	v_addc_co_u32_e32 v15, vcc, 0, v85, vcc
	global_load_dwordx2 v[168:169], v[12:13], off offset:512
	global_load_dwordx2 v[162:163], v[12:13], off offset:3712
	;; [unrolled: 1-line block ×6, first 2 shown]
	v_mad_u64_u32 v[6:7], s[6:7], s12, v141, v[0:1]
	v_add_u32_e32 v7, s2, v7
	global_load_dwordx2 v[16:17], v[0:1], off
	global_load_dwordx2 v[18:19], v[6:7], off
	v_mad_u64_u32 v[0:1], s[6:7], s12, v141, v[6:7]
	v_add_u32_e32 v1, s2, v1
	global_load_dwordx2 v[6:7], v[0:1], off
	v_mad_u64_u32 v[0:1], s[6:7], s12, v141, v[0:1]
	v_add_u32_e32 v1, s2, v1
	;; [unrolled: 3-line block ×3, first 2 shown]
	v_mov_b32_e32 v217, 0xffff95c0
	v_add_u32_e32 v193, 0x1800, v130
	v_add_u32_e32 v191, 0x3200, v130
	;; [unrolled: 1-line block ×9, first 2 shown]
	s_mov_b32 s8, 0x3f167918
	s_mov_b32 s14, 0xbf737871
	;; [unrolled: 1-line block ×4, first 2 shown]
	s_mov_b64 s[18:19], 0xc8
	s_movk_i32 s24, 0x64
	s_load_dwordx2 s[0:1], s[0:1], 0x38
	s_waitcnt vmcnt(15)
	v_mul_f32_e32 v22, v3, v145
	v_mul_f32_e32 v23, v2, v145
	v_fmac_f32_e32 v22, v2, v144
	v_fma_f32 v23, v3, v144, -v23
	s_waitcnt vmcnt(13)
	v_mul_f32_e32 v2, v5, v139
	v_mul_f32_e32 v3, v4, v139
	v_fmac_f32_e32 v2, v4, v138
	v_fma_f32 v3, v5, v138, -v3
	ds_write_b64 v130, v[2:3] offset:3200
	global_load_dwordx2 v[4:5], v[0:1], off
	v_mad_u64_u32 v[0:1], s[6:7], s12, v141, v[0:1]
	s_waitcnt vmcnt(12)
	v_mul_f32_e32 v2, v9, v137
	v_mul_f32_e32 v3, v8, v137
	v_fmac_f32_e32 v2, v8, v136
	v_add_co_u32_e32 v8, vcc, s23, v84
	v_fma_f32 v3, v9, v136, -v3
	s_nop 0
	v_addc_co_u32_e32 v9, vcc, 0, v85, vcc
	v_add_u32_e32 v1, s2, v1
	global_load_dwordx2 v[166:167], v[8:9], off offset:1920
	global_load_dwordx2 v[24:25], v[0:1], off
	v_add_co_u32_e32 v26, vcc, s20, v84
	v_mad_u64_u32 v[0:1], s[6:7], s12, v141, v[0:1]
	s_nop 0
	v_addc_co_u32_e32 v27, vcc, 0, v85, vcc
	global_load_dwordx2 v[164:165], v[26:27], off offset:1024
	v_add_u32_e32 v1, s2, v1
	s_movk_i32 s6, 0x7000
	global_load_dwordx2 v[28:29], v[0:1], off
	v_add_co_u32_e32 v86, vcc, s6, v84
	v_mad_u64_u32 v[0:1], s[6:7], s12, v217, v[0:1]
	s_nop 0
	v_addc_co_u32_e32 v87, vcc, 0, v85, vcc
	global_load_dwordx2 v[160:161], v[86:87], off offset:128
	s_mul_i32 s6, s13, 0xffff95c0
	s_sub_i32 s6, s6, s12
	v_add_u32_e32 v1, s6, v1
	global_load_dwordx2 v[30:31], v[0:1], off
	v_mad_u64_u32 v[0:1], s[6:7], s12, v141, v[0:1]
	v_add_u32_e32 v1, s2, v1
	ds_write_b64 v130, v[2:3] offset:6400
	global_load_dwordx2 v[2:3], v[0:1], off
	v_mad_u64_u32 v[0:1], s[6:7], s12, v141, v[0:1]
	v_add_u32_e32 v1, s2, v1
	global_load_dwordx2 v[32:33], v[0:1], off
	v_mad_u64_u32 v[0:1], s[6:7], s12, v141, v[0:1]
	v_add_u32_e32 v1, s2, v1
	global_load_dwordx2 v[34:35], v[0:1], off
	global_load_dwordx2 v[150:151], v[12:13], off offset:2112
	global_load_dwordx2 v[156:157], v[10:11], off offset:3008
	v_mad_u64_u32 v[0:1], s[6:7], s12, v141, v[0:1]
	v_add_u32_e32 v1, s2, v1
	global_load_dwordx2 v[10:11], v[0:1], off
	v_mad_u64_u32 v[0:1], s[6:7], s12, v141, v[0:1]
	v_add_u32_e32 v1, s2, v1
	global_load_dwordx2 v[12:13], v[0:1], off
	global_load_dwordx2 v[146:147], v[8:9], off offset:320
	global_load_dwordx2 v[154:155], v[14:15], off offset:1216
	;; [unrolled: 8-line block ×3, first 2 shown]
	v_mad_u64_u32 v[0:1], s[6:7], s12, v141, v[0:1]
	v_add_u32_e32 v1, s2, v1
	global_load_dwordx2 v[8:9], v[0:1], off
	v_mad_u64_u32 v[0:1], s[6:7], s12, v141, v[0:1]
	v_add_u32_e32 v1, s2, v1
	global_load_dwordx2 v[26:27], v[0:1], off
	global_load_dwordx2 v[148:149], v[86:87], off offset:1728
	s_waitcnt vmcnt(26)
	v_mul_f32_e32 v38, v16, v171
	v_mul_f32_e32 v0, v17, v171
	v_fma_f32 v1, v17, v170, -v38
	v_fmac_f32_e32 v0, v16, v170
	ds_write_b64 v130, v[0:1] offset:9600
	s_waitcnt vmcnt(25)
	v_mul_f32_e32 v0, v19, v169
	v_mul_f32_e32 v1, v18, v169
	v_fmac_f32_e32 v0, v18, v168
	v_fma_f32 v1, v19, v168, -v1
	ds_write_b64 v130, v[0:1] offset:12800
	s_waitcnt vmcnt(24)
	v_mul_f32_e32 v0, v7, v163
	v_mul_f32_e32 v1, v6, v163
	v_fmac_f32_e32 v0, v6, v162
	v_fma_f32 v1, v7, v162, -v1
	;; [unrolled: 6-line block ×4, first 2 shown]
	ds_write_b64 v130, v[0:1] offset:22400
	s_mov_b32 s6, 0x3f737871
	s_mov_b32 s2, 0x3e9e377a
	;; [unrolled: 1-line block ×3, first 2 shown]
	s_waitcnt vmcnt(19)
	v_mul_f32_e32 v0, v25, v165
	v_mul_f32_e32 v1, v24, v165
	v_fmac_f32_e32 v0, v24, v164
	v_fma_f32 v1, v25, v164, -v1
	ds_write_b64 v130, v[0:1] offset:25600
	s_mov_b32 s12, 0x3f4f1bbd
	v_cmp_gt_u16_e32 vcc, s24, v128
	s_waitcnt vmcnt(17)
	v_mul_f32_e32 v0, v29, v161
	v_mul_f32_e32 v1, v28, v161
	v_fmac_f32_e32 v0, v28, v160
	v_fma_f32 v1, v29, v160, -v1
	ds_write_b64 v130, v[0:1] offset:28800
	s_waitcnt vmcnt(16)
	v_mul_f32_e32 v0, v31, v189
	v_mul_f32_e32 v1, v30, v189
	v_fmac_f32_e32 v0, v30, v188
	v_fma_f32 v1, v31, v188, -v1
	ds_write2_b64 v130, v[22:23], v[0:1] offset1:200
	s_waitcnt vmcnt(15)
	v_mul_f32_e32 v0, v3, v181
	v_mul_f32_e32 v1, v2, v181
	v_fmac_f32_e32 v0, v2, v180
	v_fma_f32 v1, v3, v180, -v1
	ds_write_b64 v130, v[0:1] offset:4800
	s_waitcnt vmcnt(14)
	v_mul_f32_e32 v0, v33, v187
	v_mul_f32_e32 v1, v32, v187
	v_fmac_f32_e32 v0, v32, v186
	v_fma_f32 v1, v33, v186, -v1
	ds_write_b64 v130, v[0:1] offset:8000
	s_waitcnt vmcnt(11)
	v_mul_f32_e32 v0, v35, v157
	v_mul_f32_e32 v1, v34, v157
	v_fmac_f32_e32 v0, v34, v156
	v_fma_f32 v1, v35, v156, -v1
	ds_write_b64 v130, v[0:1] offset:11200
	s_waitcnt vmcnt(10)
	v_mul_f32_e32 v0, v11, v151
	v_mul_f32_e32 v1, v10, v151
	v_fmac_f32_e32 v0, v10, v150
	v_fma_f32 v1, v11, v150, -v1
	ds_write_b64 v130, v[0:1] offset:14400
	s_waitcnt vmcnt(7)
	v_mul_f32_e32 v0, v13, v155
	v_mul_f32_e32 v1, v12, v155
	v_fmac_f32_e32 v0, v12, v154
	v_fma_f32 v1, v13, v154, -v1
	ds_write_b64 v130, v[0:1] offset:17600
	s_waitcnt vmcnt(6)
	v_mul_f32_e32 v0, v15, v147
	v_mul_f32_e32 v1, v14, v147
	v_fmac_f32_e32 v0, v14, v146
	v_fma_f32 v1, v15, v146, -v1
	ds_write_b64 v130, v[0:1] offset:20800
	s_waitcnt vmcnt(3)
	v_mul_f32_e32 v0, v37, v153
	v_mul_f32_e32 v1, v36, v153
	v_fmac_f32_e32 v0, v36, v152
	v_fma_f32 v1, v37, v152, -v1
	ds_write_b64 v130, v[0:1] offset:24000
	s_waitcnt vmcnt(2)
	v_mul_f32_e32 v0, v9, v143
	v_mul_f32_e32 v1, v8, v143
	v_fmac_f32_e32 v0, v8, v142
	v_fma_f32 v1, v9, v142, -v1
	ds_write_b64 v130, v[0:1] offset:27200
	s_waitcnt vmcnt(0)
	v_mul_f32_e32 v0, v27, v149
	v_mul_f32_e32 v1, v26, v149
	v_fmac_f32_e32 v0, v26, v148
	v_fma_f32 v1, v27, v148, -v1
	ds_write_b64 v130, v[0:1] offset:30400
	s_waitcnt lgkmcnt(0)
	s_barrier
	ds_read2_b64 v[0:3], v130 offset1:200
	ds_read2_b64 v[14:17], v193 offset0:32 offset1:232
	ds_read2_b64 v[18:21], v191 offset1:200
	ds_read2_b64 v[22:25], v229 offset0:32 offset1:232
	ds_read2_b64 v[26:29], v219 offset1:200
	s_waitcnt lgkmcnt(3)
	v_pk_add_f32 v[4:5], v[2:3], v[16:17]
	s_waitcnt lgkmcnt(2)
	v_pk_add_f32 v[10:11], v[4:5], v[20:21]
	v_pk_add_f32 v[4:5], v[0:1], v[14:15]
	v_pk_add_f32 v[8:9], v[14:15], v[18:19] neg_lo:[0,1] neg_hi:[0,1]
	v_pk_add_f32 v[30:31], v[4:5], v[18:19]
	v_pk_add_f32 v[12:13], v[18:19], v[14:15] neg_lo:[0,1] neg_hi:[0,1]
	s_waitcnt lgkmcnt(0)
	v_pk_add_f32 v[42:43], v[14:15], v[26:27] neg_lo:[0,1] neg_hi:[0,1]
	v_pk_add_f32 v[44:45], v[14:15], v[26:27]
	v_pk_add_f32 v[14:15], v[30:31], v[22:23]
	;; [unrolled: 1-line block ×3, first 2 shown]
	v_pk_add_f32 v[6:7], v[18:19], v[22:23] neg_lo:[0,1] neg_hi:[0,1]
	v_pk_add_f32 v[34:35], v[20:21], v[24:25]
	v_pk_add_f32 v[36:37], v[20:21], v[24:25] neg_lo:[0,1] neg_hi:[0,1]
	v_pk_add_f32 v[38:39], v[16:17], v[20:21] neg_lo:[0,1] neg_hi:[0,1]
	;; [unrolled: 1-line block ×4, first 2 shown]
	v_pk_add_f32 v[48:49], v[16:17], v[28:29]
	v_pk_add_f32 v[10:11], v[10:11], v[24:25]
	;; [unrolled: 1-line block ×3, first 2 shown]
	ds_read2_b64 v[14:17], v205 offset0:16 offset1:216
	ds_read2_b64 v[18:21], v203 offset0:48 offset1:248
	v_pk_add_f32 v[50:51], v[26:27], v[22:23] neg_lo:[0,1] neg_hi:[0,1]
	v_pk_add_f32 v[52:53], v[22:23], v[26:27] neg_lo:[0,1] neg_hi:[0,1]
	v_pk_add_f32 v[54:55], v[28:29], v[24:25] neg_lo:[0,1] neg_hi:[0,1]
	v_pk_add_f32 v[56:57], v[24:25], v[28:29] neg_lo:[0,1] neg_hi:[0,1]
	v_pk_add_f32 v[10:11], v[10:11], v[28:29]
	ds_read2_b64 v[22:25], v195 offset0:16 offset1:216
	ds_read2_b64 v[26:29], v197 offset0:16 offset1:216
	;; [unrolled: 1-line block ×3, first 2 shown]
	s_waitcnt lgkmcnt(3)
	v_pk_add_f32 v[62:63], v[14:15], v[18:19]
	v_pk_add_f32 v[60:61], v[16:17], v[20:21]
	s_waitcnt lgkmcnt(2)
	v_pk_add_f32 v[72:73], v[20:21], v[24:25] neg_lo:[0,1] neg_hi:[0,1]
	v_pk_add_f32 v[74:75], v[20:21], v[24:25]
	s_waitcnt lgkmcnt(1)
	v_pk_add_f32 v[76:77], v[28:29], v[20:21] neg_lo:[0,1] neg_hi:[0,1]
	v_pk_add_f32 v[78:79], v[20:21], v[28:29] neg_lo:[0,1] neg_hi:[0,1]
	v_pk_add_f32 v[20:21], v[62:63], v[26:27]
	v_pk_add_f32 v[64:65], v[18:19], v[22:23] neg_lo:[0,1] neg_hi:[0,1]
	v_pk_add_f32 v[66:67], v[18:19], v[22:23]
	v_pk_add_f32 v[68:69], v[26:27], v[18:19] neg_lo:[0,1] neg_hi:[0,1]
	v_pk_add_f32 v[70:71], v[18:19], v[26:27] neg_lo:[0,1] neg_hi:[0,1]
	v_pk_add_f32 v[18:19], v[60:61], v[28:29]
	s_waitcnt lgkmcnt(0)
	v_pk_add_f32 v[60:61], v[26:27], v[30:31] neg_lo:[0,1] neg_hi:[0,1]
	v_pk_add_f32 v[20:21], v[20:21], v[30:31]
	v_pk_add_f32 v[26:27], v[26:27], v[30:31]
	v_pk_add_f32 v[80:81], v[30:31], v[22:23] neg_lo:[0,1] neg_hi:[0,1]
	v_pk_add_f32 v[30:31], v[22:23], v[30:31] neg_lo:[0,1] neg_hi:[0,1]
	v_pk_add_f32 v[22:23], v[20:21], v[22:23]
	v_pk_add_f32 v[12:13], v[12:13], v[52:53]
	v_pk_fma_f32 v[20:21], v[66:67], 0.5, v[14:15] op_sel_hi:[1,0,1] neg_lo:[1,0,0] neg_hi:[1,0,0]
	v_pk_mul_f32 v[52:53], v[60:61], s[6:7] op_sel_hi:[1,0]
	v_pk_add_f32 v[18:19], v[18:19], v[32:33]
	v_pk_add_f32 v[66:67], v[20:21], v[52:53] op_sel:[0,1] op_sel_hi:[1,0] neg_lo:[0,1] neg_hi:[0,1]
	v_pk_add_f32 v[20:21], v[20:21], v[52:53] op_sel:[0,1] op_sel_hi:[1,0]
	v_pk_mul_f32 v[52:53], v[64:65], s[8:9] op_sel_hi:[1,0]
	v_pk_add_f32 v[62:63], v[28:29], v[32:33] neg_lo:[0,1] neg_hi:[0,1]
	v_pk_add_f32 v[20:21], v[20:21], v[52:53] op_sel:[0,1] op_sel_hi:[1,0] neg_lo:[0,1] neg_hi:[0,1]
	v_pk_add_f32 v[52:53], v[66:67], v[52:53] op_sel:[0,1] op_sel_hi:[1,0]
	v_pk_add_f32 v[28:29], v[28:29], v[32:33]
	v_pk_add_f32 v[82:83], v[32:33], v[24:25] neg_lo:[0,1] neg_hi:[0,1]
	v_pk_add_f32 v[32:33], v[24:25], v[32:33] neg_lo:[0,1] neg_hi:[0,1]
	v_pk_add_f32 v[24:25], v[18:19], v[24:25]
	v_pk_add_f32 v[18:19], v[68:69], v[80:81]
	v_mov_b32_e32 v66, v52
	v_mov_b32_e32 v67, v21
	v_pk_fma_f32 v[66:67], v[18:19], s[2:3], v[66:67] op_sel_hi:[1,0,1]
	v_pk_fma_f32 v[44:45], v[44:45], 0.5, v[0:1] op_sel_hi:[1,0,1] neg_lo:[1,0,0] neg_hi:[1,0,0]
	v_pk_mul_f32 v[68:69], v[66:67], s[6:7] op_sel_hi:[1,0]
	v_mov_b32_e32 v21, v53
	v_pk_fma_f32 v[80:81], v[66:67], s[2:3], v[68:69] op_sel:[0,0,1] op_sel_hi:[1,0,0]
	v_pk_fma_f32 v[66:67], v[66:67], s[2:3], v[68:69] op_sel:[0,0,1] op_sel_hi:[1,0,0] neg_lo:[0,0,1] neg_hi:[0,0,1]
	v_pk_fma_f32 v[18:19], v[18:19], s[2:3], v[20:21] op_sel_hi:[1,0,1]
	v_mov_b32_e32 v81, v67
	v_pk_mul_f32 v[66:67], v[6:7], s[6:7] op_sel_hi:[1,0]
	v_pk_mul_f32 v[20:21], v[18:19], s[2:3] op_sel_hi:[1,0]
	v_pk_add_f32 v[68:69], v[44:45], v[66:67] op_sel:[0,1] op_sel_hi:[1,0] neg_lo:[0,1] neg_hi:[0,1]
	v_pk_add_f32 v[44:45], v[44:45], v[66:67] op_sel:[0,1] op_sel_hi:[1,0]
	v_pk_mul_f32 v[66:67], v[42:43], s[8:9] op_sel_hi:[1,0]
	v_pk_fma_f32 v[52:53], v[18:19], s[14:15], v[20:21] op_sel:[0,0,1] op_sel_hi:[1,1,0] neg_lo:[0,0,1] neg_hi:[0,0,1]
	v_pk_add_f32 v[44:45], v[44:45], v[66:67] op_sel:[0,1] op_sel_hi:[1,0] neg_lo:[0,1] neg_hi:[0,1]
	v_pk_add_f32 v[66:67], v[68:69], v[66:67] op_sel:[0,1] op_sel_hi:[1,0]
	v_mov_b32_e32 v19, v45
	v_mov_b32_e32 v18, v66
	;; [unrolled: 1-line block ×3, first 2 shown]
	v_pk_fma_f32 v[66:67], v[12:13], s[2:3], v[18:19] op_sel_hi:[1,0,1]
	v_pk_fma_f32 v[12:13], v[12:13], s[2:3], v[44:45] op_sel_hi:[1,0,1]
	v_mul_lo_u16_e32 v18, 10, v128
	v_lshlrev_b32_e32 v209, 3, v18
	v_pk_add_f32 v[18:19], v[66:67], v[80:81]
	v_pk_add_f32 v[20:21], v[12:13], v[52:53] op_sel:[0,1] op_sel_hi:[1,0]
	v_pk_fma_f32 v[0:1], v[4:5], 0.5, v[0:1] op_sel_hi:[1,0,1] neg_lo:[1,0,0] neg_hi:[1,0,0]
	v_pk_mul_f32 v[4:5], v[42:43], s[6:7] op_sel_hi:[1,0]
	s_barrier
	ds_write_b128 v209, v[18:21] offset:16
	v_pk_add_f32 v[18:19], v[0:1], v[4:5] op_sel:[0,1] op_sel_hi:[1,0]
	v_pk_add_f32 v[0:1], v[0:1], v[4:5] op_sel:[0,1] op_sel_hi:[1,0] neg_lo:[0,1] neg_hi:[0,1]
	v_pk_mul_f32 v[4:5], v[6:7], s[8:9] op_sel_hi:[1,0]
	v_pk_fma_f32 v[6:7], v[26:27], 0.5, v[14:15] op_sel_hi:[1,0,1] neg_lo:[1,0,0] neg_hi:[1,0,0]
	v_pk_mul_f32 v[14:15], v[64:65], s[6:7] op_sel_hi:[1,0]
	v_pk_add_f32 v[0:1], v[0:1], v[4:5] op_sel:[0,1] op_sel_hi:[1,0] neg_lo:[0,1] neg_hi:[0,1]
	v_pk_add_f32 v[20:21], v[6:7], v[14:15] op_sel:[0,1] op_sel_hi:[1,0]
	v_pk_add_f32 v[6:7], v[6:7], v[14:15] op_sel:[0,1] op_sel_hi:[1,0] neg_lo:[0,1] neg_hi:[0,1]
	v_pk_mul_f32 v[14:15], v[60:61], s[8:9] op_sel_hi:[1,0]
	v_pk_add_f32 v[18:19], v[18:19], v[4:5] op_sel:[0,1] op_sel_hi:[1,0]
	v_pk_add_f32 v[4:5], v[70:71], v[30:31]
	v_pk_add_f32 v[20:21], v[14:15], v[20:21] op_sel:[1,0] op_sel_hi:[0,1]
	v_pk_add_f32 v[6:7], v[6:7], v[14:15] op_sel:[0,1] op_sel_hi:[1,0] neg_lo:[0,1] neg_hi:[0,1]
	s_mov_b32 s9, s12
	v_pk_fma_f32 v[14:15], v[4:5], s[2:3], v[6:7] op_sel_hi:[1,0,1]
	v_mov_b32_e32 v7, v21
	v_pk_fma_f32 v[26:27], v[4:5], s[2:3], v[6:7] op_sel_hi:[1,0,1]
	v_pk_fma_f32 v[20:21], v[4:5], s[2:3], v[20:21] op_sel_hi:[1,0,1]
	v_pk_mul_f32 v[30:31], v[26:27], s[12:13] op_sel_hi:[1,0]
	s_mov_b32 s13, s8
	v_pk_mul_f32 v[4:5], v[20:21], s[12:13] op_sel_hi:[0,1]
	v_pk_fma_f32 v[20:21], v[14:15], s[8:9], v[4:5] op_sel:[1,0,0]
	v_pk_fma_f32 v[4:5], v[14:15], s[8:9], v[4:5] op_sel:[1,0,0] neg_lo:[0,0,1] neg_hi:[0,0,1]
	v_pk_add_f32 v[8:9], v[8:9], v[50:51]
	v_mov_b32_e32 v21, v5
	v_mov_b32_e32 v4, v18
	;; [unrolled: 1-line block ×4, first 2 shown]
	v_pk_fma_f32 v[14:15], v[8:9], s[2:3], v[4:5] op_sel_hi:[1,0,1]
	v_pk_fma_f32 v[0:1], v[8:9], s[2:3], v[0:1] op_sel_hi:[1,0,1]
	v_pk_fma_f32 v[8:9], v[26:27], s[16:17], v[30:31] op_sel:[0,0,1] op_sel_hi:[1,1,0] neg_lo:[0,0,1] neg_hi:[0,0,1]
	v_pk_add_f32 v[4:5], v[58:59], v[22:23]
	v_pk_add_f32 v[6:7], v[14:15], v[20:21]
	v_pk_add_f32 v[18:19], v[0:1], v[8:9] op_sel:[1,0] op_sel_hi:[0,1]
	ds_write_b128 v209, v[4:7]
	v_pk_add_f32 v[6:7], v[58:59], v[22:23] neg_lo:[0,1] neg_hi:[0,1]
	v_mov_b32_e32 v4, v19
	v_mov_b32_e32 v5, v18
	ds_write_b128 v209, v[4:7] offset:32
	v_pk_add_f32 v[4:5], v[14:15], v[20:21] neg_lo:[0,1] neg_hi:[0,1]
	v_pk_add_f32 v[6:7], v[66:67], v[80:81] neg_lo:[0,1] neg_hi:[0,1]
	ds_write_b128 v209, v[4:7] offset:48
	v_pk_add_f32 v[0:1], v[0:1], v[8:9] op_sel:[1,0] op_sel_hi:[0,1] neg_lo:[0,1] neg_hi:[0,1]
	v_pk_add_f32 v[4:5], v[12:13], v[52:53] op_sel:[0,1] op_sel_hi:[1,0] neg_lo:[0,1] neg_hi:[0,1]
	v_pk_fma_f32 v[8:9], v[74:75], 0.5, v[16:17] op_sel_hi:[1,0,1] neg_lo:[1,0,0] neg_hi:[1,0,0]
	v_pk_mul_f32 v[12:13], v[62:63], s[6:7] op_sel_hi:[1,0]
	v_mov_b32_e32 v6, v1
	v_pk_add_f32 v[14:15], v[8:9], v[12:13] op_sel:[0,1] op_sel_hi:[1,0] neg_lo:[0,1] neg_hi:[0,1]
	v_pk_add_f32 v[8:9], v[8:9], v[12:13] op_sel:[0,1] op_sel_hi:[1,0]
	v_pk_mul_f32 v[12:13], v[72:73], s[8:9] op_sel_hi:[1,0]
	v_mov_b32_e32 v7, v0
	v_pk_add_f32 v[8:9], v[8:9], v[12:13] op_sel:[0,1] op_sel_hi:[1,0] neg_lo:[0,1] neg_hi:[0,1]
	v_pk_add_f32 v[12:13], v[14:15], v[12:13] op_sel:[0,1] op_sel_hi:[1,0]
	ds_write_b128 v209, v[4:7] offset:64
	v_pk_add_f32 v[4:5], v[76:77], v[82:83]
	v_mov_b32_e32 v14, v12
	v_mov_b32_e32 v15, v9
	v_pk_fma_f32 v[14:15], v[4:5], s[2:3], v[14:15] op_sel_hi:[1,0,1]
	v_pk_fma_f32 v[0:1], v[48:49], 0.5, v[2:3] op_sel_hi:[1,0,1] neg_lo:[1,0,0] neg_hi:[1,0,0]
	v_pk_mul_f32 v[18:19], v[14:15], s[6:7] op_sel_hi:[1,0]
	v_mov_b32_e32 v9, v13
	v_pk_fma_f32 v[20:21], v[14:15], s[2:3], v[18:19] op_sel:[0,0,1] op_sel_hi:[1,0,0]
	v_pk_fma_f32 v[14:15], v[14:15], s[2:3], v[18:19] op_sel:[0,0,1] op_sel_hi:[1,0,0] neg_lo:[0,0,1] neg_hi:[0,0,1]
	v_pk_fma_f32 v[4:5], v[4:5], s[2:3], v[8:9] op_sel_hi:[1,0,1]
	v_mov_b32_e32 v21, v15
	v_pk_mul_f32 v[14:15], v[36:37], s[6:7] op_sel_hi:[1,0]
	v_pk_mul_f32 v[8:9], v[4:5], s[2:3] op_sel_hi:[1,0]
	v_pk_add_f32 v[18:19], v[0:1], v[14:15] op_sel:[0,1] op_sel_hi:[1,0] neg_lo:[0,1] neg_hi:[0,1]
	v_pk_add_f32 v[0:1], v[0:1], v[14:15] op_sel:[0,1] op_sel_hi:[1,0]
	v_pk_mul_f32 v[14:15], v[46:47], s[8:9] op_sel_hi:[1,0]
	s_mov_b32 s7, 0
	v_pk_add_f32 v[0:1], v[0:1], v[14:15] op_sel:[0,1] op_sel_hi:[1,0] neg_lo:[0,1] neg_hi:[0,1]
	v_pk_add_f32 v[14:15], v[18:19], v[14:15] op_sel:[0,1] op_sel_hi:[1,0]
	v_pk_fma_f32 v[6:7], v[34:35], 0.5, v[2:3] op_sel_hi:[1,0,1] neg_lo:[1,0,0] neg_hi:[1,0,0]
	v_pk_add_f32 v[2:3], v[40:41], v[56:57]
	v_pk_fma_f32 v[8:9], v[4:5], s[14:15], v[8:9] op_sel:[0,0,1] op_sel_hi:[1,1,0] neg_lo:[0,0,1] neg_hi:[0,0,1]
	v_mov_b32_e32 v4, v14
	v_mov_b32_e32 v5, v1
	v_mov_b32_e32 v129, s7
	v_mov_b32_e32 v1, v15
	v_pk_fma_f32 v[12:13], v[2:3], s[2:3], v[4:5] op_sel_hi:[1,0,1]
	v_lshl_add_u64 v[4:5], v[128:129], 0, s[18:19]
	v_pk_fma_f32 v[14:15], v[2:3], s[2:3], v[0:1] op_sel_hi:[1,0,1]
	v_mul_u32_u24_e32 v0, 10, v4
	v_lshlrev_b32_e32 v129, 3, v0
	v_pk_add_f32 v[0:1], v[12:13], v[20:21]
	v_pk_add_f32 v[2:3], v[14:15], v[8:9] op_sel:[0,1] op_sel_hi:[1,0]
	ds_write_b128 v129, v[0:3] offset:16
	v_pk_fma_f32 v[0:1], v[28:29], 0.5, v[16:17] op_sel_hi:[1,0,1] neg_lo:[1,0,0] neg_hi:[1,0,0]
	v_pk_mul_f32 v[16:17], v[46:47], s[6:7] op_sel_hi:[1,0]
	v_pk_add_f32 v[2:3], v[38:39], v[54:55]
	v_pk_add_f32 v[18:19], v[6:7], v[16:17] op_sel:[0,1] op_sel_hi:[1,0]
	v_pk_add_f32 v[6:7], v[6:7], v[16:17] op_sel:[0,1] op_sel_hi:[1,0] neg_lo:[0,1] neg_hi:[0,1]
	v_pk_mul_f32 v[16:17], v[36:37], s[8:9] op_sel_hi:[1,0]
	s_nop 0
	v_pk_add_f32 v[6:7], v[6:7], v[16:17] op_sel:[0,1] op_sel_hi:[1,0] neg_lo:[0,1] neg_hi:[0,1]
	v_pk_add_f32 v[16:17], v[18:19], v[16:17] op_sel:[0,1] op_sel_hi:[1,0]
	v_mov_b32_e32 v23, v7
	v_mov_b32_e32 v22, v16
	;; [unrolled: 1-line block ×3, first 2 shown]
	v_pk_fma_f32 v[16:17], v[2:3], s[2:3], v[22:23] op_sel_hi:[1,0,1]
	v_pk_fma_f32 v[6:7], v[2:3], s[2:3], v[6:7] op_sel_hi:[1,0,1]
	v_pk_mul_f32 v[2:3], v[72:73], s[6:7] op_sel_hi:[1,0]
	v_pk_add_f32 v[18:19], v[78:79], v[32:33]
	v_pk_add_f32 v[22:23], v[0:1], v[2:3] op_sel:[0,1] op_sel_hi:[1,0]
	v_pk_add_f32 v[0:1], v[0:1], v[2:3] op_sel:[0,1] op_sel_hi:[1,0] neg_lo:[0,1] neg_hi:[0,1]
	v_pk_mul_f32 v[2:3], v[62:63], s[8:9] op_sel_hi:[1,0]
	s_movk_i32 s7, 0xcd
	v_pk_add_f32 v[22:23], v[2:3], v[22:23] op_sel:[1,0] op_sel_hi:[0,1]
	v_pk_add_f32 v[0:1], v[0:1], v[2:3] op_sel:[0,1] op_sel_hi:[1,0] neg_lo:[0,1] neg_hi:[0,1]
	s_nop 0
	v_pk_fma_f32 v[2:3], v[18:19], s[2:3], v[0:1] op_sel_hi:[1,0,1]
	v_mov_b32_e32 v1, v23
	v_pk_fma_f32 v[0:1], v[18:19], s[2:3], v[0:1] op_sel_hi:[1,0,1]
	v_pk_fma_f32 v[22:23], v[18:19], s[2:3], v[22:23] op_sel_hi:[1,0,1]
	v_pk_mul_f32 v[18:19], v[0:1], s[12:13] op_sel_hi:[1,0]
	s_nop 0
	v_pk_fma_f32 v[18:19], v[0:1], s[16:17], v[18:19] op_sel:[0,0,1] op_sel_hi:[1,1,0] neg_lo:[0,0,1] neg_hi:[0,0,1]
	v_pk_mul_f32 v[0:1], v[22:23], s[12:13] op_sel_hi:[0,1]
	v_pk_fma_f32 v[22:23], v[2:3], s[8:9], v[0:1] op_sel:[1,0,0]
	v_pk_fma_f32 v[0:1], v[2:3], s[8:9], v[0:1] op_sel:[1,0,0] neg_lo:[0,0,1] neg_hi:[0,0,1]
	v_pk_add_f32 v[26:27], v[6:7], v[18:19] op_sel:[1,0] op_sel_hi:[0,1]
	v_mov_b32_e32 v23, v1
	v_pk_add_f32 v[0:1], v[10:11], v[24:25]
	v_pk_add_f32 v[2:3], v[16:17], v[22:23]
	ds_write_b128 v129, v[0:3]
	v_pk_add_f32 v[2:3], v[10:11], v[24:25] neg_lo:[0,1] neg_hi:[0,1]
	v_mov_b32_e32 v0, v27
	v_mov_b32_e32 v1, v26
	ds_write_b128 v129, v[0:3] offset:32
	v_pk_add_f32 v[0:1], v[16:17], v[22:23] neg_lo:[0,1] neg_hi:[0,1]
	v_pk_add_f32 v[2:3], v[12:13], v[20:21] neg_lo:[0,1] neg_hi:[0,1]
	v_pk_add_f32 v[6:7], v[6:7], v[18:19] op_sel:[1,0] op_sel_hi:[0,1] neg_lo:[0,1] neg_hi:[0,1]
	ds_write_b128 v129, v[0:3] offset:48
	v_pk_add_f32 v[0:1], v[14:15], v[8:9] op_sel:[0,1] op_sel_hi:[1,0] neg_lo:[0,1] neg_hi:[0,1]
	v_mov_b32_e32 v2, v7
	v_mov_b32_e32 v3, v6
	ds_write_b128 v129, v[0:3] offset:64
	v_mul_lo_u16_sdwa v0, v128, s7 dst_sel:DWORD dst_unused:UNUSED_PAD src0_sel:BYTE_0 src1_sel:DWORD
	v_lshrrev_b16_e32 v2, 11, v0
	v_mul_lo_u16_e32 v0, 10, v2
	v_sub_u16_e32 v0, v128, v0
	s_mov_b32 s7, 0xcccd
	v_and_b32_e32 v3, 0xff, v0
	v_mul_u32_u24_sdwa v0, v4, s7 dst_sel:DWORD dst_unused:UNUSED_PAD src0_sel:WORD_0 src1_sel:DWORD
	v_lshrrev_b32_e32 v5, 19, v0
	v_mul_lo_u16_e32 v0, 10, v5
	v_sub_u16_e32 v42, v4, v0
	v_mul_lo_u16_e32 v0, 0x48, v42
	v_mov_b32_e32 v1, v131
	v_lshl_add_u64 v[6:7], s[10:11], 0, v[0:1]
	s_waitcnt lgkmcnt(0)
	s_barrier
	global_load_dwordx4 v[20:23], v[6:7], off
	s_movk_i32 s7, 0x48
	v_mov_b64_e32 v[0:1], s[10:11]
	v_mad_u64_u32 v[8:9], s[18:19], v3, s7, v[0:1]
	global_load_dwordx4 v[132:135], v[8:9], off
	global_load_dwordx4 v[28:31], v[6:7], off offset:16
	global_load_dwordx4 v[16:19], v[8:9], off offset:16
	;; [unrolled: 1-line block ×6, first 2 shown]
	global_load_dwordx2 v[174:175], v[6:7], off offset:64
	global_load_dwordx2 v[172:173], v[8:9], off offset:64
	ds_read2_b64 v[8:11], v205 offset0:16 offset1:216
	ds_read2_b64 v[36:39], v203 offset0:48 offset1:248
	ds_read2_b64 v[48:51], v197 offset0:16 offset1:216
	s_mov_b32 s18, s8
	s_mov_b32 s19, s16
	s_waitcnt vmcnt(8)
	v_mov_b32_e32 v206, v135
	s_waitcnt vmcnt(7)
	v_mov_b32_e32 v212, v31
	;; [unrolled: 2-line block ×3, first 2 shown]
	s_waitcnt lgkmcnt(2)
	v_pk_mul_f32 v[12:13], v[10:11], v[20:21] op_sel_hi:[1,0]
	v_mov_b32_e32 v6, v21
	v_pk_fma_f32 v[6:7], v[10:11], v[6:7], v[12:13] op_sel:[0,0,1] op_sel_hi:[1,1,0]
	v_pk_fma_f32 v[60:61], v[10:11], v[20:21], v[12:13] op_sel:[0,1,1] op_sel_hi:[1,1,0] neg_lo:[1,0,0] neg_hi:[1,0,0]
	ds_read2_b64 v[12:15], v193 offset0:32 offset1:232
	v_pk_mul_f32 v[10:11], v[8:9], v[132:133] op_sel:[0,1]
	v_mov_b32_e32 v228, v23
	v_pk_fma_f32 v[62:63], v[8:9], v[132:133], v[10:11] op_sel:[0,0,1] op_sel_hi:[1,1,0] neg_lo:[0,0,1] neg_hi:[0,0,1]
	v_pk_fma_f32 v[64:65], v[8:9], v[132:133], v[10:11] op_sel:[0,0,1] op_sel_hi:[1,0,0]
	s_waitcnt lgkmcnt(0)
	v_pk_mul_f32 v[8:9], v[14:15], v[228:229] op_sel_hi:[1,0]
	s_waitcnt vmcnt(5)
	v_mov_b32_e32 v204, v35
	v_pk_fma_f32 v[10:11], v[14:15], v[22:23], v[8:9] op_sel:[0,0,1] op_sel_hi:[1,1,0] neg_lo:[0,0,1] neg_hi:[0,0,1]
	v_pk_fma_f32 v[66:67], v[14:15], v[22:23], v[8:9] op_sel:[0,0,1] op_sel_hi:[1,0,0]
	v_pk_mul_f32 v[8:9], v[12:13], v[206:207] op_sel_hi:[1,0]
	s_waitcnt vmcnt(4)
	v_mov_b32_e32 v190, v27
	v_pk_fma_f32 v[68:69], v[12:13], v[134:135], v[8:9] op_sel:[0,0,1] op_sel_hi:[1,1,0] neg_lo:[0,0,1] neg_hi:[0,0,1]
	v_pk_fma_f32 v[70:71], v[12:13], v[134:135], v[8:9] op_sel:[0,0,1] op_sel_hi:[1,0,0]
	v_pk_mul_f32 v[12:13], v[38:39], v[28:29] op_sel_hi:[1,0]
	v_mov_b32_e32 v8, v29
	v_pk_fma_f32 v[8:9], v[38:39], v[8:9], v[12:13] op_sel:[0,0,1] op_sel_hi:[1,1,0]
	v_pk_fma_f32 v[72:73], v[38:39], v[28:29], v[12:13] op_sel:[0,1,1] op_sel_hi:[1,1,0] neg_lo:[1,0,0] neg_hi:[1,0,0]
	ds_read2_b64 v[38:41], v191 offset1:200
	v_pk_mul_f32 v[12:13], v[36:37], v[16:17] op_sel:[0,1]
	s_waitcnt vmcnt(3)
	v_mov_b32_e32 v194, v59
	v_pk_fma_f32 v[74:75], v[36:37], v[16:17], v[12:13] op_sel:[0,0,1] op_sel_hi:[1,1,0] neg_lo:[0,0,1] neg_hi:[0,0,1]
	v_pk_fma_f32 v[76:77], v[36:37], v[16:17], v[12:13] op_sel:[0,0,1] op_sel_hi:[1,0,0]
	s_waitcnt lgkmcnt(0)
	v_pk_mul_f32 v[12:13], v[40:41], v[212:213] op_sel_hi:[1,0]
	v_pk_mul_f32 v[36:37], v[50:51], v[32:33] op_sel_hi:[1,0]
	v_pk_fma_f32 v[14:15], v[40:41], v[30:31], v[12:13] op_sel:[0,0,1] op_sel_hi:[1,1,0] neg_lo:[0,0,1] neg_hi:[0,0,1]
	v_pk_fma_f32 v[78:79], v[40:41], v[30:31], v[12:13] op_sel:[0,0,1] op_sel_hi:[1,0,0]
	v_pk_mul_f32 v[12:13], v[38:39], v[196:197] op_sel_hi:[1,0]
	v_pk_fma_f32 v[88:89], v[50:51], v[32:33], v[36:37] op_sel:[0,1,1] op_sel_hi:[1,1,0] neg_lo:[1,0,0] neg_hi:[1,0,0]
	v_pk_fma_f32 v[80:81], v[38:39], v[18:19], v[12:13] op_sel:[0,0,1] op_sel_hi:[1,1,0] neg_lo:[0,0,1] neg_hi:[0,0,1]
	v_pk_fma_f32 v[82:83], v[38:39], v[18:19], v[12:13] op_sel:[0,0,1] op_sel_hi:[1,0,0]
	v_mov_b32_e32 v12, v33
	v_pk_fma_f32 v[12:13], v[50:51], v[12:13], v[36:37] op_sel:[0,0,1] op_sel_hi:[1,1,0]
	ds_read2_b64 v[50:53], v229 offset0:32 offset1:232
	v_pk_mul_f32 v[36:37], v[48:49], v[24:25] op_sel:[0,1]
	s_waitcnt vmcnt(2)
	v_mov_b32_e32 v0, v47
	v_pk_fma_f32 v[90:91], v[48:49], v[24:25], v[36:37] op_sel:[0,0,1] op_sel_hi:[1,1,0] neg_lo:[0,0,1] neg_hi:[0,0,1]
	v_pk_fma_f32 v[92:93], v[48:49], v[24:25], v[36:37] op_sel:[0,0,1] op_sel_hi:[1,0,0]
	s_waitcnt lgkmcnt(0)
	v_pk_mul_f32 v[36:37], v[52:53], v[204:205] op_sel_hi:[1,0]
	v_mov_b32_e32 v69, v71
	v_pk_fma_f32 v[38:39], v[52:53], v[34:35], v[36:37] op_sel:[0,0,1] op_sel_hi:[1,1,0] neg_lo:[0,0,1] neg_hi:[0,0,1]
	v_pk_fma_f32 v[94:95], v[52:53], v[34:35], v[36:37] op_sel:[0,0,1] op_sel_hi:[1,0,0]
	ds_read2_b64 v[52:55], v199 offset0:48 offset1:248
	v_pk_mul_f32 v[36:37], v[50:51], v[190:191] op_sel_hi:[1,0]
	v_mov_b32_e32 v81, v83
	v_pk_fma_f32 v[96:97], v[50:51], v[26:27], v[36:37] op_sel:[0,0,1] op_sel_hi:[1,1,0] neg_lo:[0,0,1] neg_hi:[0,0,1]
	v_pk_fma_f32 v[98:99], v[50:51], v[26:27], v[36:37] op_sel:[0,0,1] op_sel_hi:[1,0,0]
	ds_read2_b64 v[48:51], v219 offset1:200
	s_waitcnt lgkmcnt(1)
	v_pk_mul_f32 v[40:41], v[54:55], v[56:57] op_sel_hi:[1,0]
	v_mov_b32_e32 v36, v57
	v_pk_fma_f32 v[36:37], v[54:55], v[36:37], v[40:41] op_sel:[0,0,1] op_sel_hi:[1,1,0]
	v_pk_fma_f32 v[54:55], v[54:55], v[56:57], v[40:41] op_sel:[0,1,1] op_sel_hi:[1,1,0] neg_lo:[1,0,0] neg_hi:[1,0,0]
	v_pk_mul_f32 v[40:41], v[52:53], v[44:45] op_sel:[0,1]
	v_mov_b32_e32 v97, v99
	v_pk_fma_f32 v[100:101], v[52:53], v[44:45], v[40:41] op_sel:[0,0,1] op_sel_hi:[1,1,0] neg_lo:[0,0,1] neg_hi:[0,0,1]
	v_pk_fma_f32 v[102:103], v[52:53], v[44:45], v[40:41] op_sel:[0,0,1] op_sel_hi:[1,0,0]
	s_waitcnt lgkmcnt(0)
	v_pk_mul_f32 v[40:41], v[50:51], v[194:195] op_sel_hi:[1,0]
	v_mov_b32_e32 v63, v65
	v_pk_fma_f32 v[104:105], v[50:51], v[58:59], v[40:41] op_sel:[0,0,1] op_sel_hi:[1,1,0] neg_lo:[0,0,1] neg_hi:[0,0,1]
	v_pk_fma_f32 v[106:107], v[50:51], v[58:59], v[40:41] op_sel:[0,0,1] op_sel_hi:[1,0,0]
	ds_read2_b64 v[50:53], v195 offset0:16 offset1:216
	v_pk_mul_f32 v[40:41], v[48:49], v[0:1] op_sel_hi:[1,0]
	v_pk_add_f32 v[64:65], v[68:69], v[80:81] neg_lo:[0,1] neg_hi:[0,1]
	v_pk_fma_f32 v[108:109], v[48:49], v[46:47], v[40:41] op_sel:[0,0,1] op_sel_hi:[1,1,0] neg_lo:[0,0,1] neg_hi:[0,0,1]
	v_pk_fma_f32 v[48:49], v[48:49], v[46:47], v[40:41] op_sel:[0,0,1] op_sel_hi:[1,0,0]
	s_waitcnt vmcnt(1) lgkmcnt(0)
	v_pk_mul_f32 v[110:111], v[52:53], v[174:175] op_sel_hi:[1,0]
	v_mov_b32_e32 v40, v175
	v_pk_fma_f32 v[40:41], v[52:53], v[40:41], v[110:111] op_sel:[0,0,1] op_sel_hi:[1,1,0]
	v_pk_fma_f32 v[52:53], v[52:53], v[174:175], v[110:111] op_sel:[0,1,1] op_sel_hi:[1,1,0] neg_lo:[1,0,0] neg_hi:[1,0,0]
	s_waitcnt vmcnt(0)
	v_pk_mul_f32 v[110:111], v[50:51], v[172:173] op_sel:[0,1]
	v_mov_b32_e32 v109, v49
	v_pk_fma_f32 v[112:113], v[50:51], v[172:173], v[110:111] op_sel:[0,0,1] op_sel_hi:[1,1,0] neg_lo:[0,0,1] neg_hi:[0,0,1]
	v_pk_fma_f32 v[50:51], v[50:51], v[172:173], v[110:111] op_sel:[0,0,1] op_sel_hi:[1,0,0]
	v_pk_add_f32 v[70:71], v[108:109], v[96:97] neg_lo:[0,1] neg_hi:[0,1]
	v_mov_b32_e32 v113, v51
	ds_read2_b64 v[48:51], v130 offset1:200
	v_mov_b32_e32 v75, v77
	v_pk_add_f32 v[64:65], v[64:65], v[70:71]
	v_pk_add_f32 v[70:71], v[80:81], v[96:97]
	v_pk_add_f32 v[76:77], v[68:69], v[108:109] neg_lo:[0,1] neg_hi:[0,1]
	s_waitcnt lgkmcnt(0)
	v_pk_fma_f32 v[70:71], v[70:71], 0.5, v[48:49] op_sel_hi:[1,0,1] neg_lo:[1,0,0] neg_hi:[1,0,0]
	v_pk_mul_f32 v[82:83], v[76:77], s[6:7] op_sel_hi:[1,0]
	v_mov_b32_e32 v91, v93
	v_pk_add_f32 v[92:93], v[70:71], v[82:83] op_sel:[0,1] op_sel_hi:[1,0]
	v_pk_add_f32 v[70:71], v[70:71], v[82:83] op_sel:[0,1] op_sel_hi:[1,0] neg_lo:[0,1] neg_hi:[0,1]
	v_pk_add_f32 v[82:83], v[80:81], v[96:97] neg_lo:[0,1] neg_hi:[0,1]
	v_mov_b32_e32 v101, v103
	v_pk_mul_f32 v[98:99], v[82:83], s[8:9] op_sel_hi:[1,0]
	v_pk_add_f32 v[102:103], v[112:113], v[100:101] neg_lo:[0,1] neg_hi:[0,1]
	v_pk_add_f32 v[70:71], v[70:71], v[98:99] op_sel:[0,1] op_sel_hi:[1,0] neg_lo:[0,1] neg_hi:[0,1]
	v_pk_add_f32 v[92:93], v[92:93], v[98:99] op_sel:[0,1] op_sel_hi:[1,0]
	v_pk_add_f32 v[98:99], v[74:75], v[90:91] neg_lo:[0,1] neg_hi:[0,1]
	v_pk_add_f32 v[110:111], v[74:75], v[112:113] neg_lo:[0,1] neg_hi:[0,1]
	v_pk_add_f32 v[98:99], v[98:99], v[102:103]
	v_pk_add_f32 v[102:103], v[90:91], v[100:101]
	v_pk_mul_f32 v[114:115], v[110:111], s[6:7] op_sel_hi:[1,0]
	v_pk_fma_f32 v[102:103], v[102:103], 0.5, v[62:63] op_sel_hi:[1,0,1] neg_lo:[1,0,0] neg_hi:[1,0,0]
	v_mul_u32_u24_e32 v0, 0x64, v2
	v_pk_add_f32 v[116:117], v[102:103], v[114:115] op_sel:[0,1] op_sel_hi:[1,0]
	v_pk_add_f32 v[102:103], v[102:103], v[114:115] op_sel:[0,1] op_sel_hi:[1,0] neg_lo:[0,1] neg_hi:[0,1]
	v_pk_add_f32 v[114:115], v[90:91], v[100:101] neg_lo:[0,1] neg_hi:[0,1]
	v_mov_b32_e32 v176, v92
	v_pk_mul_f32 v[118:119], v[114:115], s[8:9] op_sel_hi:[1,0]
	v_mov_b32_e32 v177, v71
	v_pk_add_f32 v[102:103], v[102:103], v[118:119] op_sel:[0,1] op_sel_hi:[1,0] neg_lo:[0,1] neg_hi:[0,1]
	v_pk_add_f32 v[116:117], v[116:117], v[118:119] op_sel:[0,1] op_sel_hi:[1,0]
	v_mov_b32_e32 v119, v103
	v_mov_b32_e32 v118, v116
	v_pk_fma_f32 v[118:119], v[98:99], s[2:3], v[118:119] op_sel_hi:[1,0,1]
	v_mov_b32_e32 v71, v93
	v_pk_mul_f32 v[120:121], v[118:119], s[8:9] op_sel_hi:[1,0]
	v_mov_b32_e32 v103, v117
	v_pk_fma_f32 v[122:123], v[118:119], s[12:13], v[120:121] op_sel:[0,0,1] op_sel_hi:[1,0,0]
	v_pk_fma_f32 v[118:119], v[118:119], s[12:13], v[120:121] op_sel:[0,0,1] op_sel_hi:[1,0,0] neg_lo:[0,0,1] neg_hi:[0,0,1]
	v_pk_add_f32 v[120:121], v[62:63], v[74:75]
	v_mov_b32_e32 v123, v119
	v_pk_add_f32 v[118:119], v[48:49], v[68:69]
	v_pk_add_f32 v[120:121], v[120:121], v[90:91]
	v_pk_add_f32 v[118:119], v[118:119], v[80:81]
	v_pk_add_f32 v[80:81], v[80:81], v[68:69] neg_lo:[0,1] neg_hi:[0,1]
	v_pk_add_f32 v[118:119], v[118:119], v[96:97]
	v_pk_add_f32 v[68:69], v[68:69], v[108:109]
	v_pk_add_f32 v[96:97], v[96:97], v[108:109] neg_lo:[0,1] neg_hi:[0,1]
	v_pk_fma_f32 v[48:49], v[68:69], 0.5, v[48:49] op_sel_hi:[1,0,1] neg_lo:[1,0,0] neg_hi:[1,0,0]
	v_pk_add_f32 v[80:81], v[80:81], v[96:97]
	v_pk_add_f32 v[96:97], v[74:75], v[112:113]
	v_pk_mul_f32 v[68:69], v[82:83], s[6:7] op_sel_hi:[1,0]
	v_pk_fma_f32 v[62:63], v[96:97], 0.5, v[62:63] op_sel_hi:[1,0,1] neg_lo:[1,0,0] neg_hi:[1,0,0]
	v_pk_add_f32 v[82:83], v[48:49], v[68:69] op_sel:[0,1] op_sel_hi:[1,0] neg_lo:[0,1] neg_hi:[0,1]
	v_pk_add_f32 v[48:49], v[48:49], v[68:69] op_sel:[0,1] op_sel_hi:[1,0]
	v_pk_mul_f32 v[68:69], v[76:77], s[8:9] op_sel_hi:[1,0]
	v_pk_mul_f32 v[76:77], v[114:115], s[6:7] op_sel_hi:[1,0]
	v_pk_add_f32 v[48:49], v[48:49], v[68:69] op_sel:[0,1] op_sel_hi:[1,0] neg_lo:[0,1] neg_hi:[0,1]
	v_pk_add_f32 v[68:69], v[82:83], v[68:69] op_sel:[0,1] op_sel_hi:[1,0]
	v_pk_add_f32 v[82:83], v[62:63], v[76:77] op_sel:[0,1] op_sel_hi:[1,0] neg_lo:[0,1] neg_hi:[0,1]
	v_pk_add_f32 v[62:63], v[62:63], v[76:77] op_sel:[0,1] op_sel_hi:[1,0]
	v_pk_mul_f32 v[76:77], v[110:111], s[8:9] op_sel_hi:[1,0]
	v_pk_add_f32 v[74:75], v[90:91], v[74:75] neg_lo:[0,1] neg_hi:[0,1]
	v_pk_add_f32 v[90:91], v[100:101], v[112:113] neg_lo:[0,1] neg_hi:[0,1]
	v_pk_add_f32 v[62:63], v[62:63], v[76:77] op_sel:[0,1] op_sel_hi:[1,0] neg_lo:[0,1] neg_hi:[0,1]
	v_pk_add_f32 v[76:77], v[82:83], v[76:77] op_sel:[0,1] op_sel_hi:[1,0]
	v_pk_add_f32 v[74:75], v[74:75], v[90:91]
	v_mov_b32_e32 v82, v76
	v_mov_b32_e32 v83, v63
	v_pk_fma_f32 v[82:83], v[74:75], s[2:3], v[82:83] op_sel_hi:[1,0,1]
	v_mov_b32_e32 v63, v77
	v_pk_mul_f32 v[90:91], v[82:83], s[6:7] op_sel_hi:[1,0]
	v_pk_fma_f32 v[62:63], v[74:75], s[2:3], v[62:63] op_sel_hi:[1,0,1]
	v_pk_fma_f32 v[96:97], v[82:83], s[2:3], v[90:91] op_sel:[0,0,1] op_sel_hi:[1,0,0]
	v_pk_fma_f32 v[82:83], v[82:83], s[2:3], v[90:91] op_sel:[0,0,1] op_sel_hi:[1,0,0] neg_lo:[0,0,1] neg_hi:[0,0,1]
	v_pk_mul_f32 v[74:75], v[62:63], s[2:3] op_sel_hi:[1,0]
	v_mov_b32_e32 v97, v83
	v_mov_b32_e32 v82, v68
	;; [unrolled: 1-line block ×4, first 2 shown]
	v_pk_fma_f32 v[68:69], v[80:81], s[2:3], v[82:83] op_sel_hi:[1,0,1]
	v_pk_fma_f32 v[48:49], v[80:81], s[2:3], v[48:49] op_sel_hi:[1,0,1]
	v_pk_fma_f32 v[62:63], v[62:63], s[14:15], v[74:75] op_sel:[0,0,1] op_sel_hi:[1,1,0] neg_lo:[0,0,1] neg_hi:[0,0,1]
	v_add_lshl_u32 v207, v0, v3, 3
	v_pk_fma_f32 v[176:177], v[64:65], s[2:3], v[176:177] op_sel_hi:[1,0,1]
	v_pk_add_f32 v[74:75], v[68:69], v[96:97]
	v_pk_add_f32 v[76:77], v[48:49], v[62:63] op_sel:[0,1] op_sel_hi:[1,0]
	v_pk_fma_f32 v[64:65], v[64:65], s[2:3], v[70:71] op_sel_hi:[1,0,1]
	v_pk_fma_f32 v[70:71], v[98:99], s[2:3], v[102:103] op_sel_hi:[1,0,1]
	s_barrier
	ds_write2_b64 v207, v[74:75], v[76:77] offset0:20 offset1:30
	v_pk_mul_f32 v[74:75], v[70:71], s[12:13] op_sel_hi:[1,0]
	v_pk_add_f32 v[48:49], v[48:49], v[62:63] op_sel:[0,1] op_sel_hi:[1,0] neg_lo:[0,1] neg_hi:[0,1]
	v_pk_fma_f32 v[70:71], v[70:71], s[16:17], v[74:75] op_sel:[0,0,1] op_sel_hi:[1,1,0] neg_lo:[0,0,1] neg_hi:[0,0,1]
	v_mov_b32_e32 v11, v67
	v_pk_add_f32 v[62:63], v[64:65], v[70:71] op_sel:[0,1] op_sel_hi:[1,0] neg_lo:[0,1] neg_hi:[0,1]
	v_mov_b32_e32 v15, v79
	v_mov_b32_e32 v39, v95
	;; [unrolled: 1-line block ×3, first 2 shown]
	ds_write2_b64 v207, v[48:49], v[62:63] offset0:80 offset1:90
	v_mov_b32_e32 v9, v73
	v_mov_b32_e32 v13, v89
	;; [unrolled: 1-line block ×4, first 2 shown]
	v_pk_add_f32 v[48:49], v[10:11], v[14:15] neg_lo:[0,1] neg_hi:[0,1]
	v_pk_add_f32 v[52:53], v[104:105], v[38:39] neg_lo:[0,1] neg_hi:[0,1]
	;; [unrolled: 1-line block ×3, first 2 shown]
	v_pk_add_f32 v[48:49], v[48:49], v[52:53]
	v_pk_add_f32 v[52:53], v[8:9], v[12:13] neg_lo:[0,1] neg_hi:[0,1]
	v_mov_b32_e32 v7, v61
	v_pk_add_f32 v[52:53], v[52:53], v[54:55]
	v_pk_add_f32 v[54:55], v[12:13], v[36:37]
	v_pk_add_f32 v[60:61], v[8:9], v[40:41] neg_lo:[0,1] neg_hi:[0,1]
	v_pk_fma_f32 v[54:55], v[54:55], 0.5, v[6:7] op_sel_hi:[1,0,1] neg_lo:[1,0,0] neg_hi:[1,0,0]
	v_pk_add_f32 v[120:121], v[120:121], v[100:101]
	v_pk_add_f32 v[76:77], v[64:65], v[70:71] op_sel:[0,1] op_sel_hi:[1,0]
	v_pk_fma_f32 v[62:63], v[60:61], s[6:7], v[54:55] op_sel:[1,0,0] op_sel_hi:[0,0,1]
	v_pk_fma_f32 v[54:55], v[60:61], s[6:7], v[54:55] op_sel:[1,0,0] op_sel_hi:[0,0,1] neg_lo:[1,0,0] neg_hi:[1,0,0]
	v_pk_add_f32 v[64:65], v[12:13], v[36:37] neg_lo:[0,1] neg_hi:[0,1]
	v_pk_add_f32 v[118:119], v[118:119], v[108:109]
	v_pk_add_f32 v[120:121], v[120:121], v[112:113]
	v_pk_fma_f32 v[54:55], v[64:65], s[8:9], v[54:55] op_sel:[1,0,0] op_sel_hi:[0,0,1] neg_lo:[1,0,0] neg_hi:[1,0,0]
	v_pk_fma_f32 v[62:63], v[64:65], s[8:9], v[62:63] op_sel:[1,0,0] op_sel_hi:[0,0,1]
	v_pk_add_f32 v[74:75], v[118:119], v[120:121] neg_lo:[0,1] neg_hi:[0,1]
	v_mov_b32_e32 v66, v62
	v_mov_b32_e32 v67, v55
	ds_write2_b64 v207, v[76:77], v[74:75] offset0:40 offset1:50
	v_pk_add_f32 v[74:75], v[176:177], v[122:123] neg_lo:[0,1] neg_hi:[0,1]
	v_pk_add_f32 v[68:69], v[68:69], v[96:97] neg_lo:[0,1] neg_hi:[0,1]
	v_pk_fma_f32 v[66:67], v[52:53], s[2:3], v[66:67] op_sel_hi:[1,0,1]
	ds_write2_b64 v207, v[74:75], v[68:69] offset0:60 offset1:70
	v_pk_mul_f32 v[68:69], v[66:67], s[12:13] op_sel_hi:[1,0]
	v_mad_legacy_u16 v0, v5, s24, v42
	v_pk_add_f32 v[42:43], v[14:15], v[38:39]
	v_pk_fma_f32 v[66:67], v[66:67], s[18:19], v[68:69] op_sel:[0,0,1] op_sel_hi:[1,1,0] neg_lo:[0,0,1] neg_hi:[0,0,1]
	v_pk_fma_f32 v[42:43], v[42:43], 0.5, v[50:51] op_sel_hi:[1,0,1] neg_lo:[1,0,0] neg_hi:[1,0,0]
	v_pk_add_f32 v[68:69], v[10:11], v[104:105] neg_lo:[0,1] neg_hi:[0,1]
	v_pk_add_f32 v[72:73], v[14:15], v[38:39] neg_lo:[0,1] neg_hi:[0,1]
	v_pk_fma_f32 v[70:71], v[68:69], s[6:7], v[42:43] op_sel:[1,0,0] op_sel_hi:[0,0,1] neg_lo:[1,0,0] neg_hi:[1,0,0]
	v_pk_fma_f32 v[42:43], v[68:69], s[6:7], v[42:43] op_sel:[1,0,0] op_sel_hi:[0,0,1]
	v_pk_fma_f32 v[42:43], v[72:73], s[8:9], v[42:43] op_sel:[1,0,0] op_sel_hi:[0,0,1]
	v_pk_fma_f32 v[70:71], v[72:73], s[8:9], v[70:71] op_sel:[1,0,0] op_sel_hi:[0,0,1] neg_lo:[1,0,0] neg_hi:[1,0,0]
	v_mov_b32_e32 v74, v70
	v_mov_b32_e32 v75, v43
	;; [unrolled: 1-line block ×4, first 2 shown]
	v_pk_fma_f32 v[74:75], v[48:49], s[2:3], v[74:75] op_sel_hi:[1,0,1]
	v_pk_add_f32 v[76:77], v[50:51], v[10:11]
	v_pk_add_f32 v[78:79], v[6:7], v[8:9]
	v_pk_fma_f32 v[42:43], v[48:49], s[2:3], v[42:43] op_sel_hi:[1,0,1]
	v_pk_fma_f32 v[48:49], v[52:53], s[2:3], v[54:55] op_sel_hi:[1,0,1]
	v_pk_add_f32 v[76:77], v[76:77], v[14:15]
	v_pk_add_f32 v[78:79], v[78:79], v[12:13]
	v_pk_mul_f32 v[52:53], v[48:49], s[8:9] op_sel_hi:[1,0]
	v_pk_add_f32 v[76:77], v[76:77], v[38:39]
	v_pk_add_f32 v[78:79], v[78:79], v[36:37]
	v_pk_fma_f32 v[54:55], v[48:49], s[12:13], v[52:53] op_sel:[0,0,1] op_sel_hi:[1,0,0]
	v_pk_fma_f32 v[48:49], v[48:49], s[12:13], v[52:53] op_sel:[0,0,1] op_sel_hi:[1,0,0] neg_lo:[0,0,1] neg_hi:[0,0,1]
	v_pk_add_f32 v[76:77], v[76:77], v[104:105]
	v_pk_add_f32 v[78:79], v[78:79], v[40:41]
	v_mov_b32_e32 v52, v55
	v_mov_b32_e32 v53, v48
	v_pk_add_f32 v[178:179], v[118:119], v[120:121]
	v_pk_add_f32 v[182:183], v[176:177], v[122:123]
	v_lshlrev_b32_e32 v231, 3, v0
	v_pk_add_f32 v[82:83], v[76:77], v[78:79] op_sel:[0,1] op_sel_hi:[1,0] neg_lo:[0,1] neg_hi:[0,1]
	v_pk_add_f32 v[76:77], v[76:77], v[78:79] op_sel:[0,1] op_sel_hi:[1,0]
	v_pk_add_f32 v[48:49], v[42:43], v[52:53]
	ds_write2_b64 v207, v[178:179], v[182:183] offset1:10
	ds_write2_b64 v231, v[76:77], v[48:49] offset1:10
	v_pk_add_f32 v[48:49], v[10:11], v[104:105]
	v_pk_add_f32 v[10:11], v[14:15], v[10:11] neg_lo:[0,1] neg_hi:[0,1]
	v_pk_fma_f32 v[48:49], v[48:49], 0.5, v[50:51] op_sel_hi:[1,0,1] neg_lo:[1,0,0] neg_hi:[1,0,0]
	v_pk_add_f32 v[14:15], v[38:39], v[104:105] neg_lo:[0,1] neg_hi:[0,1]
	v_pk_fma_f32 v[38:39], v[72:73], s[6:7], v[48:49] op_sel:[1,0,0] op_sel_hi:[0,0,1] neg_lo:[1,0,0] neg_hi:[1,0,0]
	v_pk_add_f32 v[10:11], v[10:11], v[14:15]
	v_pk_fma_f32 v[14:15], v[72:73], s[6:7], v[48:49] op_sel:[1,0,0] op_sel_hi:[0,0,1]
	v_pk_add_f32 v[48:49], v[8:9], v[40:41]
	v_pk_add_f32 v[8:9], v[12:13], v[8:9] neg_lo:[0,1] neg_hi:[0,1]
	v_pk_fma_f32 v[6:7], v[48:49], 0.5, v[6:7] op_sel_hi:[1,0,1] neg_lo:[1,0,0] neg_hi:[1,0,0]
	v_pk_add_f32 v[12:13], v[36:37], v[40:41] neg_lo:[0,1] neg_hi:[0,1]
	v_lshrrev_b16_e32 v0, 2, v4
	v_pk_add_f32 v[8:9], v[8:9], v[12:13]
	v_pk_fma_f32 v[12:13], v[64:65], s[6:7], v[6:7] op_sel:[1,0,0] op_sel_hi:[0,0,1] neg_lo:[1,0,0] neg_hi:[1,0,0]
	v_pk_fma_f32 v[6:7], v[64:65], s[6:7], v[6:7] op_sel:[1,0,0] op_sel_hi:[0,0,1]
	v_pk_fma_f32 v[6:7], v[60:61], s[8:9], v[6:7] op_sel:[1,0,0] op_sel_hi:[0,0,1] neg_lo:[1,0,0] neg_hi:[1,0,0]
	v_pk_fma_f32 v[12:13], v[60:61], s[8:9], v[12:13] op_sel:[1,0,0] op_sel_hi:[0,0,1]
	v_mov_b32_e32 v36, v12
	v_mov_b32_e32 v37, v7
	;; [unrolled: 1-line block ×3, first 2 shown]
	v_pk_fma_f32 v[36:37], v[8:9], s[2:3], v[36:37] op_sel_hi:[1,0,1]
	s_mov_b32 s7, s14
	v_pk_fma_f32 v[6:7], v[8:9], s[2:3], v[6:7] op_sel_hi:[1,0,1]
	v_pk_fma_f32 v[38:39], v[68:69], s[8:9], v[38:39] op_sel:[1,0,0] op_sel_hi:[0,0,1]
	v_pk_fma_f32 v[14:15], v[68:69], s[8:9], v[14:15] op_sel:[1,0,0] op_sel_hi:[0,0,1] neg_lo:[1,0,0] neg_hi:[1,0,0]
	v_pk_mul_f32 v[40:41], v[36:37], s[2:3] op_sel_hi:[1,0]
	v_pk_mul_f32 v[8:9], v[6:7], s[6:7] op_sel_hi:[1,0]
	v_mul_u32_u24_e32 v0, 0x147b, v0
	v_pk_fma_f32 v[36:37], v[36:37], s[6:7], v[40:41] op_sel:[0,0,1] op_sel_hi:[1,1,0] neg_lo:[0,0,1] neg_hi:[0,0,1]
	v_mov_b32_e32 v40, v14
	v_mov_b32_e32 v41, v39
	;; [unrolled: 1-line block ×3, first 2 shown]
	v_pk_fma_f32 v[12:13], v[6:7], s[2:3], v[8:9] op_sel:[0,0,1] op_sel_hi:[1,0,0]
	v_pk_fma_f32 v[6:7], v[6:7], s[2:3], v[8:9] op_sel:[0,0,1] op_sel_hi:[1,0,0] neg_lo:[0,0,1] neg_hi:[0,0,1]
	v_lshrrev_b32_e32 v23, 17, v0
	v_pk_add_f32 v[80:81], v[74:75], v[66:67]
	v_pk_fma_f32 v[14:15], v[10:11], s[2:3], v[40:41] op_sel_hi:[1,0,1]
	v_pk_fma_f32 v[10:11], v[10:11], s[2:3], v[38:39] op_sel_hi:[1,0,1]
	v_mov_b32_e32 v8, v13
	v_mov_b32_e32 v9, v6
	v_mul_lo_u16_e32 v0, 0x64, v23
	ds_write2_b64 v231, v[80:81], v[82:83] offset0:40 offset1:50
	v_pk_add_f32 v[6:7], v[14:15], v[36:37]
	v_pk_add_f32 v[12:13], v[10:11], v[8:9]
	v_sub_u16_e32 v82, v4, v0
	ds_write2_b64 v231, v[12:13], v[6:7] offset0:20 offset1:30
	v_pk_add_f32 v[6:7], v[42:43], v[52:53] neg_lo:[0,1] neg_hi:[0,1]
	v_pk_add_f32 v[8:9], v[10:11], v[8:9] neg_lo:[0,1] neg_hi:[0,1]
	v_mul_lo_u16_e32 v4, 0x48, v82
	v_mov_b32_e32 v5, v131
	ds_write2_b64 v231, v[6:7], v[8:9] offset0:60 offset1:70
	v_pk_add_f32 v[6:7], v[74:75], v[66:67] neg_lo:[0,1] neg_hi:[0,1]
	v_pk_add_f32 v[8:9], v[14:15], v[36:37] neg_lo:[0,1] neg_hi:[0,1]
	v_lshl_add_u64 v[4:5], s[10:11], 0, v[4:5]
	ds_write2_b64 v231, v[8:9], v[6:7] offset0:80 offset1:90
	s_waitcnt lgkmcnt(0)
	s_barrier
	global_load_dwordx4 v[40:43], v[4:5], off offset:720
	v_add_u32_e32 v0, 0xffffff9c, v128
	v_cndmask_b32_e32 v0, v0, v128, vcc
	v_mul_hi_i32_i24_e32 v7, 0x48, v0
	v_mul_i32_i24_e32 v6, 0x48, v0
	v_lshl_add_u64 v[6:7], s[10:11], 0, v[6:7]
	global_load_dwordx4 v[8:11], v[6:7], off offset:720
	global_load_dwordx4 v[64:67], v[4:5], off offset:736
	;; [unrolled: 1-line block ×7, first 2 shown]
	global_load_dwordx2 v[178:179], v[4:5], off offset:784
	global_load_dwordx2 v[176:177], v[6:7], off offset:784
	ds_read2_b64 v[12:15], v205 offset0:16 offset1:216
	ds_read2_b64 v[36:39], v193 offset0:32 offset1:232
	;; [unrolled: 1-line block ×4, first 2 shown]
	s_movk_i32 s24, 0x63
	v_mov_b32_e32 v1, 0x3e8
	v_cmp_lt_u16_e32 vcc, s24, v128
	s_waitcnt vmcnt(8)
	v_mov_b32_e32 v216, v11
	s_waitcnt vmcnt(7)
	v_mov_b32_e32 v218, v67
	s_waitcnt lgkmcnt(3)
	v_pk_mul_f32 v[6:7], v[14:15], v[40:41] op_sel_hi:[1,0]
	v_mov_b32_e32 v4, v41
	v_pk_fma_f32 v[4:5], v[14:15], v[4:5], v[6:7] op_sel:[0,0,1] op_sel_hi:[1,1,0]
	v_pk_fma_f32 v[96:97], v[14:15], v[40:41], v[6:7] op_sel:[0,1,1] op_sel_hi:[1,1,0] neg_lo:[1,0,0] neg_hi:[1,0,0]
	v_pk_mul_f32 v[6:7], v[12:13], v[8:9] op_sel:[0,1]
	v_mov_b32_e32 v230, v43
	v_pk_fma_f32 v[98:99], v[12:13], v[8:9], v[6:7] op_sel:[0,0,1] op_sel_hi:[1,1,0] neg_lo:[0,0,1] neg_hi:[0,0,1]
	v_pk_fma_f32 v[100:101], v[12:13], v[8:9], v[6:7] op_sel:[0,0,1] op_sel_hi:[1,0,0]
	s_waitcnt lgkmcnt(2)
	v_pk_mul_f32 v[6:7], v[38:39], v[230:231] op_sel_hi:[1,0]
	s_waitcnt lgkmcnt(1)
	v_pk_mul_f32 v[14:15], v[78:79], v[64:65] op_sel_hi:[1,0]
	v_pk_fma_f32 v[12:13], v[38:39], v[42:43], v[6:7] op_sel:[0,0,1] op_sel_hi:[1,1,0] neg_lo:[0,0,1] neg_hi:[0,0,1]
	v_pk_fma_f32 v[102:103], v[38:39], v[42:43], v[6:7] op_sel:[0,0,1] op_sel_hi:[1,0,0]
	v_pk_mul_f32 v[6:7], v[36:37], v[216:217] op_sel_hi:[1,0]
	v_pk_fma_f32 v[108:109], v[78:79], v[64:65], v[14:15] op_sel:[0,1,1] op_sel_hi:[1,1,0] neg_lo:[1,0,0] neg_hi:[1,0,0]
	v_pk_fma_f32 v[104:105], v[36:37], v[10:11], v[6:7] op_sel:[0,0,1] op_sel_hi:[1,1,0] neg_lo:[0,0,1] neg_hi:[0,0,1]
	v_pk_fma_f32 v[106:107], v[36:37], v[10:11], v[6:7] op_sel:[0,0,1] op_sel_hi:[1,0,0]
	v_mov_b32_e32 v6, v65
	v_pk_fma_f32 v[6:7], v[78:79], v[6:7], v[14:15] op_sel:[0,0,1] op_sel_hi:[1,1,0]
	ds_read2_b64 v[78:81], v191 offset1:200
	s_waitcnt vmcnt(6)
	v_pk_mul_f32 v[14:15], v[76:77], v[48:49] op_sel:[0,1]
	v_mov_b32_e32 v210, v51
	v_pk_fma_f32 v[110:111], v[76:77], v[48:49], v[14:15] op_sel:[0,0,1] op_sel_hi:[1,1,0] neg_lo:[0,0,1] neg_hi:[0,0,1]
	v_pk_fma_f32 v[112:113], v[76:77], v[48:49], v[14:15] op_sel:[0,0,1] op_sel_hi:[1,0,0]
	s_waitcnt lgkmcnt(0)
	v_pk_mul_f32 v[14:15], v[80:81], v[218:219] op_sel_hi:[1,0]
	s_waitcnt vmcnt(5)
	v_pk_mul_f32 v[38:39], v[90:91], v[68:69] op_sel_hi:[1,0]
	v_pk_fma_f32 v[36:37], v[80:81], v[66:67], v[14:15] op_sel:[0,0,1] op_sel_hi:[1,1,0] neg_lo:[0,0,1] neg_hi:[0,0,1]
	v_pk_fma_f32 v[114:115], v[80:81], v[66:67], v[14:15] op_sel:[0,0,1] op_sel_hi:[1,0,0]
	v_pk_mul_f32 v[14:15], v[78:79], v[210:211] op_sel_hi:[1,0]
	v_pk_fma_f32 v[120:121], v[90:91], v[68:69], v[38:39] op_sel:[0,1,1] op_sel_hi:[1,1,0] neg_lo:[1,0,0] neg_hi:[1,0,0]
	v_pk_fma_f32 v[116:117], v[78:79], v[50:51], v[14:15] op_sel:[0,0,1] op_sel_hi:[1,1,0] neg_lo:[0,0,1] neg_hi:[0,0,1]
	v_pk_fma_f32 v[118:119], v[78:79], v[50:51], v[14:15] op_sel:[0,0,1] op_sel_hi:[1,0,0]
	v_mov_b32_e32 v14, v69
	ds_read2_b64 v[78:81], v229 offset0:32 offset1:232
	v_pk_fma_f32 v[14:15], v[90:91], v[14:15], v[38:39] op_sel:[0,0,1] op_sel_hi:[1,1,0]
	s_waitcnt vmcnt(4)
	v_pk_mul_f32 v[38:39], v[88:89], v[52:53] op_sel:[0,1]
	v_mov_b32_e32 v214, v71
	v_pk_fma_f32 v[122:123], v[88:89], v[52:53], v[38:39] op_sel:[0,0,1] op_sel_hi:[1,1,0] neg_lo:[0,0,1] neg_hi:[0,0,1]
	v_pk_fma_f32 v[182:183], v[88:89], v[52:53], v[38:39] op_sel:[0,0,1] op_sel_hi:[1,0,0]
	ds_read2_b64 v[88:91], v199 offset0:48 offset1:248
	s_waitcnt lgkmcnt(1)
	v_pk_mul_f32 v[38:39], v[80:81], v[214:215] op_sel_hi:[1,0]
	v_mov_b32_e32 v198, v55
	v_pk_fma_f32 v[76:77], v[80:81], v[70:71], v[38:39] op_sel:[0,0,1] op_sel_hi:[1,1,0] neg_lo:[0,0,1] neg_hi:[0,0,1]
	v_pk_fma_f32 v[184:185], v[80:81], v[70:71], v[38:39] op_sel:[0,0,1] op_sel_hi:[1,0,0]
	v_pk_mul_f32 v[38:39], v[78:79], v[198:199] op_sel_hi:[1,0]
	s_waitcnt vmcnt(3)
	v_mov_b32_e32 v208, v75
	v_pk_fma_f32 v[200:201], v[78:79], v[54:55], v[38:39] op_sel:[0,0,1] op_sel_hi:[1,1,0] neg_lo:[0,0,1] neg_hi:[0,0,1]
	v_pk_fma_f32 v[220:221], v[78:79], v[54:55], v[38:39] op_sel:[0,0,1] op_sel_hi:[1,0,0]
	s_waitcnt lgkmcnt(0)
	v_pk_mul_f32 v[78:79], v[90:91], v[72:73] op_sel_hi:[1,0]
	v_mov_b32_e32 v38, v73
	v_pk_fma_f32 v[38:39], v[90:91], v[38:39], v[78:79] op_sel:[0,0,1] op_sel_hi:[1,1,0]
	v_pk_fma_f32 v[222:223], v[90:91], v[72:73], v[78:79] op_sel:[0,1,1] op_sel_hi:[1,1,0] neg_lo:[1,0,0] neg_hi:[1,0,0]
	ds_read2_b64 v[90:93], v219 offset1:200
	s_waitcnt vmcnt(2)
	v_pk_mul_f32 v[78:79], v[88:89], v[60:61] op_sel:[0,1]
	v_mov_b32_e32 v192, v63
	v_pk_fma_f32 v[224:225], v[88:89], v[60:61], v[78:79] op_sel:[0,0,1] op_sel_hi:[1,1,0] neg_lo:[0,0,1] neg_hi:[0,0,1]
	v_pk_fma_f32 v[88:89], v[88:89], v[60:61], v[78:79] op_sel:[0,0,1] op_sel_hi:[1,0,0]
	s_waitcnt lgkmcnt(0)
	v_pk_mul_f32 v[78:79], v[92:93], v[208:209] op_sel_hi:[1,0]
	v_mov_b32_e32 v225, v89
	v_pk_fma_f32 v[80:81], v[92:93], v[74:75], v[78:79] op_sel:[0,0,1] op_sel_hi:[1,1,0] neg_lo:[0,0,1] neg_hi:[0,0,1]
	v_pk_fma_f32 v[226:227], v[92:93], v[74:75], v[78:79] op_sel:[0,0,1] op_sel_hi:[1,0,0]
	ds_read2_b64 v[92:95], v195 offset0:16 offset1:216
	v_pk_mul_f32 v[78:79], v[90:91], v[192:193] op_sel_hi:[1,0]
	v_mov_b32_e32 v105, v107
	v_pk_fma_f32 v[232:233], v[90:91], v[62:63], v[78:79] op_sel:[0,0,1] op_sel_hi:[1,1,0] neg_lo:[0,0,1] neg_hi:[0,0,1]
	v_pk_fma_f32 v[90:91], v[90:91], v[62:63], v[78:79] op_sel:[0,0,1] op_sel_hi:[1,0,0]
	s_waitcnt vmcnt(1) lgkmcnt(0)
	v_pk_mul_f32 v[234:235], v[94:95], v[178:179] op_sel_hi:[1,0]
	v_mov_b32_e32 v78, v179
	v_mov_b32_e32 v233, v91
	ds_read2_b64 v[88:91], v130 offset1:200
	v_pk_fma_f32 v[78:79], v[94:95], v[78:79], v[234:235] op_sel:[0,0,1] op_sel_hi:[1,1,0]
	v_pk_fma_f32 v[94:95], v[94:95], v[178:179], v[234:235] op_sel:[0,1,1] op_sel_hi:[1,1,0] neg_lo:[1,0,0] neg_hi:[1,0,0]
	s_waitcnt vmcnt(0)
	v_pk_mul_f32 v[234:235], v[92:93], v[176:177] op_sel:[0,1]
	v_mov_b32_e32 v117, v119
	v_pk_fma_f32 v[236:237], v[92:93], v[176:177], v[234:235] op_sel:[0,0,1] op_sel_hi:[1,1,0] neg_lo:[0,0,1] neg_hi:[0,0,1]
	v_pk_fma_f32 v[92:93], v[92:93], v[176:177], v[234:235] op_sel:[0,0,1] op_sel_hi:[1,0,0]
	v_mov_b32_e32 v201, v221
	v_mov_b32_e32 v99, v101
	;; [unrolled: 1-line block ×3, first 2 shown]
	v_pk_add_f32 v[92:93], v[104:105], v[116:117] neg_lo:[0,1] neg_hi:[0,1]
	v_pk_add_f32 v[100:101], v[232:233], v[200:201] neg_lo:[0,1] neg_hi:[0,1]
	;; [unrolled: 1-line block ×3, first 2 shown]
	v_pk_add_f32 v[92:93], v[92:93], v[100:101]
	v_pk_add_f32 v[100:101], v[116:117], v[200:201]
	v_mov_b32_e32 v111, v113
	s_waitcnt lgkmcnt(0)
	v_pk_fma_f32 v[100:101], v[100:101], 0.5, v[88:89] op_sel_hi:[1,0,1] neg_lo:[1,0,0] neg_hi:[1,0,0]
	v_pk_mul_f32 v[112:113], v[106:107], s[6:7] op_sel_hi:[1,0]
	v_mov_b32_e32 v123, v183
	v_pk_add_f32 v[118:119], v[100:101], v[112:113] op_sel:[0,1] op_sel_hi:[1,0]
	v_pk_add_f32 v[100:101], v[100:101], v[112:113] op_sel:[0,1] op_sel_hi:[1,0] neg_lo:[0,1] neg_hi:[0,1]
	v_pk_add_f32 v[112:113], v[116:117], v[200:201] neg_lo:[0,1] neg_hi:[0,1]
	v_pk_add_f32 v[220:221], v[236:237], v[224:225] neg_lo:[0,1] neg_hi:[0,1]
	v_pk_mul_f32 v[182:183], v[112:113], s[8:9] op_sel_hi:[1,0]
	v_pk_add_f32 v[234:235], v[110:111], v[236:237] neg_lo:[0,1] neg_hi:[0,1]
	v_pk_add_f32 v[100:101], v[100:101], v[182:183] op_sel:[0,1] op_sel_hi:[1,0] neg_lo:[0,1] neg_hi:[0,1]
	v_pk_add_f32 v[118:119], v[118:119], v[182:183] op_sel:[0,1] op_sel_hi:[1,0]
	v_pk_add_f32 v[182:183], v[110:111], v[122:123] neg_lo:[0,1] neg_hi:[0,1]
	v_pk_mul_f32 v[238:239], v[234:235], s[6:7] op_sel_hi:[1,0]
	v_pk_add_f32 v[182:183], v[182:183], v[220:221]
	v_pk_add_f32 v[220:221], v[122:123], v[224:225]
	v_cndmask_b32_e32 v1, 0, v1, vcc
	v_pk_fma_f32 v[220:221], v[220:221], 0.5, v[98:99] op_sel_hi:[1,0,1] neg_lo:[1,0,0] neg_hi:[1,0,0]
	v_add_lshl_u32 v75, v0, v1, 3
	v_pk_add_f32 v[240:241], v[220:221], v[238:239] op_sel:[0,1] op_sel_hi:[1,0]
	v_pk_add_f32 v[220:221], v[220:221], v[238:239] op_sel:[0,1] op_sel_hi:[1,0] neg_lo:[0,1] neg_hi:[0,1]
	v_pk_add_f32 v[238:239], v[122:123], v[224:225] neg_lo:[0,1] neg_hi:[0,1]
	v_mov_b32_e32 v248, v118
	v_pk_mul_f32 v[242:243], v[238:239], s[8:9] op_sel_hi:[1,0]
	v_mov_b32_e32 v249, v101
	v_pk_add_f32 v[220:221], v[220:221], v[242:243] op_sel:[0,1] op_sel_hi:[1,0] neg_lo:[0,1] neg_hi:[0,1]
	v_pk_add_f32 v[240:241], v[240:241], v[242:243] op_sel:[0,1] op_sel_hi:[1,0]
	v_mov_b32_e32 v243, v221
	v_mov_b32_e32 v242, v240
	v_pk_fma_f32 v[242:243], v[182:183], s[2:3], v[242:243] op_sel_hi:[1,0,1]
	v_mov_b32_e32 v101, v119
	v_pk_mul_f32 v[244:245], v[242:243], s[8:9] op_sel_hi:[1,0]
	v_mov_b32_e32 v221, v241
	v_pk_fma_f32 v[246:247], v[242:243], s[12:13], v[244:245] op_sel:[0,0,1] op_sel_hi:[1,0,0]
	v_pk_fma_f32 v[242:243], v[242:243], s[12:13], v[244:245] op_sel:[0,0,1] op_sel_hi:[1,0,0] neg_lo:[0,0,1] neg_hi:[0,0,1]
	v_pk_add_f32 v[244:245], v[98:99], v[110:111]
	v_mov_b32_e32 v247, v243
	v_pk_add_f32 v[242:243], v[88:89], v[104:105]
	v_pk_add_f32 v[244:245], v[244:245], v[122:123]
	;; [unrolled: 1-line block ×3, first 2 shown]
	v_pk_add_f32 v[116:117], v[116:117], v[104:105] neg_lo:[0,1] neg_hi:[0,1]
	v_pk_add_f32 v[242:243], v[242:243], v[200:201]
	v_pk_add_f32 v[104:105], v[104:105], v[232:233]
	v_pk_add_f32 v[200:201], v[200:201], v[232:233] neg_lo:[0,1] neg_hi:[0,1]
	v_pk_fma_f32 v[88:89], v[104:105], 0.5, v[88:89] op_sel_hi:[1,0,1] neg_lo:[1,0,0] neg_hi:[1,0,0]
	v_pk_add_f32 v[116:117], v[116:117], v[200:201]
	v_pk_add_f32 v[200:201], v[110:111], v[236:237]
	v_pk_mul_f32 v[104:105], v[112:113], s[6:7] op_sel_hi:[1,0]
	v_pk_fma_f32 v[98:99], v[200:201], 0.5, v[98:99] op_sel_hi:[1,0,1] neg_lo:[1,0,0] neg_hi:[1,0,0]
	v_pk_add_f32 v[112:113], v[88:89], v[104:105] op_sel:[0,1] op_sel_hi:[1,0] neg_lo:[0,1] neg_hi:[0,1]
	v_pk_add_f32 v[88:89], v[88:89], v[104:105] op_sel:[0,1] op_sel_hi:[1,0]
	v_pk_mul_f32 v[104:105], v[106:107], s[8:9] op_sel_hi:[1,0]
	v_pk_mul_f32 v[106:107], v[238:239], s[6:7] op_sel_hi:[1,0]
	v_pk_add_f32 v[88:89], v[88:89], v[104:105] op_sel:[0,1] op_sel_hi:[1,0] neg_lo:[0,1] neg_hi:[0,1]
	v_pk_add_f32 v[104:105], v[112:113], v[104:105] op_sel:[0,1] op_sel_hi:[1,0]
	v_pk_add_f32 v[112:113], v[98:99], v[106:107] op_sel:[0,1] op_sel_hi:[1,0] neg_lo:[0,1] neg_hi:[0,1]
	v_pk_add_f32 v[98:99], v[98:99], v[106:107] op_sel:[0,1] op_sel_hi:[1,0]
	v_pk_mul_f32 v[106:107], v[234:235], s[8:9] op_sel_hi:[1,0]
	v_pk_add_f32 v[110:111], v[122:123], v[110:111] neg_lo:[0,1] neg_hi:[0,1]
	v_pk_add_f32 v[122:123], v[224:225], v[236:237] neg_lo:[0,1] neg_hi:[0,1]
	v_pk_add_f32 v[98:99], v[98:99], v[106:107] op_sel:[0,1] op_sel_hi:[1,0] neg_lo:[0,1] neg_hi:[0,1]
	v_pk_add_f32 v[106:107], v[112:113], v[106:107] op_sel:[0,1] op_sel_hi:[1,0]
	v_pk_add_f32 v[110:111], v[110:111], v[122:123]
	v_mov_b32_e32 v112, v106
	v_mov_b32_e32 v113, v99
	v_pk_fma_f32 v[112:113], v[110:111], s[2:3], v[112:113] op_sel_hi:[1,0,1]
	v_mov_b32_e32 v99, v107
	v_pk_mul_f32 v[122:123], v[112:113], s[6:7] op_sel_hi:[1,0]
	v_pk_fma_f32 v[98:99], v[110:111], s[2:3], v[98:99] op_sel_hi:[1,0,1]
	v_pk_fma_f32 v[200:201], v[112:113], s[2:3], v[122:123] op_sel:[0,0,1] op_sel_hi:[1,0,0]
	v_pk_fma_f32 v[112:113], v[112:113], s[2:3], v[122:123] op_sel:[0,0,1] op_sel_hi:[1,0,0] neg_lo:[0,0,1] neg_hi:[0,0,1]
	v_pk_mul_f32 v[106:107], v[98:99], s[2:3] op_sel_hi:[1,0]
	v_mov_b32_e32 v201, v113
	v_mov_b32_e32 v112, v104
	;; [unrolled: 1-line block ×4, first 2 shown]
	v_pk_fma_f32 v[104:105], v[116:117], s[2:3], v[112:113] op_sel_hi:[1,0,1]
	v_pk_fma_f32 v[88:89], v[116:117], s[2:3], v[88:89] op_sel_hi:[1,0,1]
	v_pk_fma_f32 v[98:99], v[98:99], s[14:15], v[106:107] op_sel:[0,0,1] op_sel_hi:[1,1,0] neg_lo:[0,0,1] neg_hi:[0,0,1]
	v_pk_fma_f32 v[248:249], v[92:93], s[2:3], v[248:249] op_sel_hi:[1,0,1]
	v_add_u32_e32 v213, 0x400, v75
	v_pk_add_f32 v[106:107], v[104:105], v[200:201]
	v_pk_add_f32 v[110:111], v[88:89], v[98:99] op_sel:[0,1] op_sel_hi:[1,0]
	v_pk_fma_f32 v[92:93], v[92:93], s[2:3], v[100:101] op_sel_hi:[1,0,1]
	v_pk_fma_f32 v[100:101], v[182:183], s[2:3], v[220:221] op_sel_hi:[1,0,1]
	s_barrier
	ds_write2_b64 v213, v[106:107], v[110:111] offset0:72 offset1:172
	v_pk_mul_f32 v[106:107], v[100:101], s[12:13] op_sel_hi:[1,0]
	v_pk_add_f32 v[88:89], v[88:89], v[98:99] op_sel:[0,1] op_sel_hi:[1,0] neg_lo:[0,1] neg_hi:[0,1]
	v_pk_fma_f32 v[100:101], v[100:101], s[16:17], v[106:107] op_sel:[0,0,1] op_sel_hi:[1,1,0] neg_lo:[0,0,1] neg_hi:[0,0,1]
	v_add_u32_e32 v215, 0x1800, v75
	v_pk_add_f32 v[110:111], v[92:93], v[100:101] op_sel:[0,1] op_sel_hi:[1,0]
	v_pk_add_f32 v[92:93], v[92:93], v[100:101] op_sel:[0,1] op_sel_hi:[1,0] neg_lo:[0,1] neg_hi:[0,1]
	v_mov_b32_e32 v13, v103
	v_mov_b32_e32 v37, v115
	;; [unrolled: 1-line block ×4, first 2 shown]
	ds_write2_b64 v215, v[88:89], v[92:93] offset0:32 offset1:132
	v_mov_b32_e32 v7, v109
	v_mov_b32_e32 v15, v121
	;; [unrolled: 1-line block ×4, first 2 shown]
	v_pk_add_f32 v[88:89], v[12:13], v[36:37] neg_lo:[0,1] neg_hi:[0,1]
	v_pk_add_f32 v[92:93], v[80:81], v[76:77] neg_lo:[0,1] neg_hi:[0,1]
	;; [unrolled: 1-line block ×3, first 2 shown]
	v_pk_add_f32 v[88:89], v[88:89], v[92:93]
	v_pk_add_f32 v[92:93], v[6:7], v[14:15] neg_lo:[0,1] neg_hi:[0,1]
	v_mov_b32_e32 v5, v97
	v_pk_add_f32 v[92:93], v[92:93], v[94:95]
	v_pk_add_f32 v[94:95], v[14:15], v[38:39]
	v_pk_add_f32 v[96:97], v[6:7], v[78:79] neg_lo:[0,1] neg_hi:[0,1]
	v_pk_fma_f32 v[94:95], v[94:95], 0.5, v[4:5] op_sel_hi:[1,0,1] neg_lo:[1,0,0] neg_hi:[1,0,0]
	v_pk_add_f32 v[244:245], v[244:245], v[224:225]
	v_pk_fma_f32 v[98:99], v[96:97], s[6:7], v[94:95] op_sel:[1,0,0] op_sel_hi:[0,0,1]
	v_pk_fma_f32 v[94:95], v[96:97], s[6:7], v[94:95] op_sel:[1,0,0] op_sel_hi:[0,0,1] neg_lo:[1,0,0] neg_hi:[1,0,0]
	v_pk_add_f32 v[100:101], v[14:15], v[38:39] neg_lo:[0,1] neg_hi:[0,1]
	v_pk_add_f32 v[242:243], v[242:243], v[232:233]
	v_pk_add_f32 v[244:245], v[244:245], v[236:237]
	v_pk_fma_f32 v[94:95], v[100:101], s[8:9], v[94:95] op_sel:[1,0,0] op_sel_hi:[0,0,1] neg_lo:[1,0,0] neg_hi:[1,0,0]
	v_pk_fma_f32 v[98:99], v[100:101], s[8:9], v[98:99] op_sel:[1,0,0] op_sel_hi:[0,0,1]
	v_pk_add_f32 v[106:107], v[242:243], v[244:245] neg_lo:[0,1] neg_hi:[0,1]
	v_add_u32_e32 v131, 0x800, v75
	v_mov_b32_e32 v102, v98
	v_mov_b32_e32 v103, v95
	ds_write2_b64 v131, v[110:111], v[106:107] offset0:144 offset1:244
	v_pk_add_f32 v[106:107], v[248:249], v[246:247] neg_lo:[0,1] neg_hi:[0,1]
	v_pk_add_f32 v[104:105], v[104:105], v[200:201] neg_lo:[0,1] neg_hi:[0,1]
	v_add_u32_e32 v211, 0x1000, v75
	v_pk_fma_f32 v[102:103], v[92:93], s[2:3], v[102:103] op_sel_hi:[1,0,1]
	s_movk_i32 s14, 0x3e8
	ds_write2_b64 v211, v[106:107], v[104:105] offset0:88 offset1:188
	v_pk_mul_f32 v[104:105], v[102:103], s[12:13] op_sel_hi:[1,0]
	v_mad_legacy_u16 v0, v23, s14, v82
	v_pk_add_f32 v[82:83], v[36:37], v[76:77]
	v_pk_fma_f32 v[102:103], v[102:103], s[18:19], v[104:105] op_sel:[0,0,1] op_sel_hi:[1,1,0] neg_lo:[0,0,1] neg_hi:[0,0,1]
	v_pk_fma_f32 v[82:83], v[82:83], 0.5, v[90:91] op_sel_hi:[1,0,1] neg_lo:[1,0,0] neg_hi:[1,0,0]
	v_pk_add_f32 v[104:105], v[12:13], v[80:81] neg_lo:[0,1] neg_hi:[0,1]
	v_pk_add_f32 v[108:109], v[36:37], v[76:77] neg_lo:[0,1] neg_hi:[0,1]
	v_pk_fma_f32 v[106:107], v[104:105], s[6:7], v[82:83] op_sel:[1,0,0] op_sel_hi:[0,0,1] neg_lo:[1,0,0] neg_hi:[1,0,0]
	v_pk_fma_f32 v[82:83], v[104:105], s[6:7], v[82:83] op_sel:[1,0,0] op_sel_hi:[0,0,1]
	v_pk_fma_f32 v[82:83], v[108:109], s[8:9], v[82:83] op_sel:[1,0,0] op_sel_hi:[0,0,1]
	v_pk_fma_f32 v[106:107], v[108:109], s[8:9], v[106:107] op_sel:[1,0,0] op_sel_hi:[0,0,1] neg_lo:[1,0,0] neg_hi:[1,0,0]
	v_mov_b32_e32 v110, v106
	v_mov_b32_e32 v111, v83
	;; [unrolled: 1-line block ×4, first 2 shown]
	v_pk_fma_f32 v[110:111], v[88:89], s[2:3], v[110:111] op_sel_hi:[1,0,1]
	v_pk_add_f32 v[112:113], v[90:91], v[12:13]
	v_pk_add_f32 v[114:115], v[4:5], v[6:7]
	v_pk_fma_f32 v[82:83], v[88:89], s[2:3], v[82:83] op_sel_hi:[1,0,1]
	v_pk_fma_f32 v[88:89], v[92:93], s[2:3], v[94:95] op_sel_hi:[1,0,1]
	v_pk_add_f32 v[112:113], v[112:113], v[36:37]
	v_pk_add_f32 v[114:115], v[114:115], v[14:15]
	v_pk_mul_f32 v[92:93], v[88:89], s[8:9] op_sel_hi:[1,0]
	v_pk_add_f32 v[112:113], v[112:113], v[76:77]
	v_pk_add_f32 v[114:115], v[114:115], v[38:39]
	v_pk_fma_f32 v[94:95], v[88:89], s[12:13], v[92:93] op_sel:[0,0,1] op_sel_hi:[1,0,0]
	v_pk_fma_f32 v[88:89], v[88:89], s[12:13], v[92:93] op_sel:[0,0,1] op_sel_hi:[1,0,0] neg_lo:[0,0,1] neg_hi:[0,0,1]
	v_pk_add_f32 v[112:113], v[112:113], v[80:81]
	v_pk_add_f32 v[114:115], v[114:115], v[78:79]
	v_mov_b32_e32 v92, v95
	v_mov_b32_e32 v93, v88
	v_pk_add_f32 v[250:251], v[242:243], v[244:245]
	v_pk_add_f32 v[252:253], v[248:249], v[246:247]
	v_lshlrev_b32_e32 v51, 3, v0
	v_pk_add_f32 v[118:119], v[112:113], v[114:115] op_sel:[0,1] op_sel_hi:[1,0] neg_lo:[0,1] neg_hi:[0,1]
	v_pk_add_f32 v[112:113], v[112:113], v[114:115] op_sel:[0,1] op_sel_hi:[1,0]
	v_pk_add_f32 v[88:89], v[82:83], v[92:93]
	ds_write2_b64 v75, v[250:251], v[252:253] offset1:100
	ds_write2_b64 v51, v[112:113], v[88:89] offset1:100
	v_pk_add_f32 v[88:89], v[12:13], v[80:81]
	v_pk_add_f32 v[12:13], v[36:37], v[12:13] neg_lo:[0,1] neg_hi:[0,1]
	v_pk_add_f32 v[36:37], v[76:77], v[80:81] neg_lo:[0,1] neg_hi:[0,1]
	v_pk_add_f32 v[80:81], v[6:7], v[78:79]
	v_pk_add_f32 v[6:7], v[14:15], v[6:7] neg_lo:[0,1] neg_hi:[0,1]
	v_pk_fma_f32 v[4:5], v[80:81], 0.5, v[4:5] op_sel_hi:[1,0,1] neg_lo:[1,0,0] neg_hi:[1,0,0]
	v_pk_add_f32 v[14:15], v[38:39], v[78:79] neg_lo:[0,1] neg_hi:[0,1]
	v_pk_fma_f32 v[88:89], v[88:89], 0.5, v[90:91] op_sel_hi:[1,0,1] neg_lo:[1,0,0] neg_hi:[1,0,0]
	v_pk_add_f32 v[6:7], v[6:7], v[14:15]
	v_pk_fma_f32 v[14:15], v[100:101], s[6:7], v[4:5] op_sel:[1,0,0] op_sel_hi:[0,0,1] neg_lo:[1,0,0] neg_hi:[1,0,0]
	v_pk_fma_f32 v[4:5], v[100:101], s[6:7], v[4:5] op_sel:[1,0,0] op_sel_hi:[0,0,1]
	v_pk_fma_f32 v[4:5], v[96:97], s[8:9], v[4:5] op_sel:[1,0,0] op_sel_hi:[0,0,1] neg_lo:[1,0,0] neg_hi:[1,0,0]
	v_pk_fma_f32 v[14:15], v[96:97], s[8:9], v[14:15] op_sel:[1,0,0] op_sel_hi:[0,0,1]
	v_mov_b32_e32 v38, v14
	v_mov_b32_e32 v39, v5
	v_mov_b32_e32 v5, v15
	v_pk_add_f32 v[12:13], v[12:13], v[36:37]
	v_pk_fma_f32 v[36:37], v[108:109], s[6:7], v[88:89] op_sel:[1,0,0] op_sel_hi:[0,0,1]
	v_pk_fma_f32 v[76:77], v[108:109], s[6:7], v[88:89] op_sel:[1,0,0] op_sel_hi:[0,0,1] neg_lo:[1,0,0] neg_hi:[1,0,0]
	v_pk_fma_f32 v[38:39], v[6:7], s[2:3], v[38:39] op_sel_hi:[1,0,1]
	v_pk_fma_f32 v[4:5], v[6:7], s[2:3], v[4:5] op_sel_hi:[1,0,1]
	v_pk_fma_f32 v[76:77], v[104:105], s[8:9], v[76:77] op_sel:[1,0,0] op_sel_hi:[0,0,1]
	v_pk_fma_f32 v[36:37], v[104:105], s[8:9], v[36:37] op_sel:[1,0,0] op_sel_hi:[0,0,1] neg_lo:[1,0,0] neg_hi:[1,0,0]
	v_pk_mul_f32 v[78:79], v[38:39], s[2:3] op_sel_hi:[1,0]
	v_pk_mul_f32 v[6:7], v[4:5], s[6:7] op_sel_hi:[1,0]
	v_pk_fma_f32 v[38:39], v[38:39], s[6:7], v[78:79] op_sel:[0,0,1] op_sel_hi:[1,1,0] neg_lo:[0,0,1] neg_hi:[0,0,1]
	v_mov_b32_e32 v78, v36
	v_mov_b32_e32 v79, v77
	;; [unrolled: 1-line block ×3, first 2 shown]
	v_pk_fma_f32 v[14:15], v[4:5], s[2:3], v[6:7] op_sel:[0,0,1] op_sel_hi:[1,0,0]
	v_pk_fma_f32 v[4:5], v[4:5], s[2:3], v[6:7] op_sel:[0,0,1] op_sel_hi:[1,0,0] neg_lo:[0,0,1] neg_hi:[0,0,1]
	v_pk_fma_f32 v[36:37], v[12:13], s[2:3], v[78:79] op_sel_hi:[1,0,1]
	v_pk_fma_f32 v[12:13], v[12:13], s[2:3], v[76:77] op_sel_hi:[1,0,1]
	v_mov_b32_e32 v6, v15
	v_mov_b32_e32 v7, v4
	v_add_u32_e32 v55, 0x400, v51
	v_pk_add_f32 v[4:5], v[36:37], v[38:39]
	v_pk_add_f32 v[14:15], v[12:13], v[6:7]
	ds_write2_b64 v55, v[14:15], v[4:5] offset0:72 offset1:172
	v_pk_add_f32 v[4:5], v[82:83], v[92:93] neg_lo:[0,1] neg_hi:[0,1]
	v_pk_add_f32 v[6:7], v[12:13], v[6:7] neg_lo:[0,1] neg_hi:[0,1]
	v_add_u32_e32 v63, 0x1000, v51
	ds_write2_b64 v63, v[4:5], v[6:7] offset0:88 offset1:188
	v_pk_add_f32 v[4:5], v[110:111], v[102:103] neg_lo:[0,1] neg_hi:[0,1]
	v_pk_add_f32 v[6:7], v[36:37], v[38:39] neg_lo:[0,1] neg_hi:[0,1]
	v_add_u32_e32 v67, 0x1800, v51
	v_mad_u64_u32 v[80:81], s[10:11], v128, 24, s[10:11]
	ds_write2_b64 v67, v[6:7], v[4:5] offset0:32 offset1:132
	v_add_co_u32_e32 v4, vcc, s21, v80
	v_add_u32_e32 v71, 0x800, v51
	s_nop 0
	v_addc_co_u32_e32 v5, vcc, 0, v81, vcc
	v_pk_add_f32 v[116:117], v[110:111], v[102:103]
	v_add_co_u32_e32 v12, vcc, s22, v80
	ds_write2_b64 v71, v[116:117], v[118:119] offset0:144 offset1:244
	s_waitcnt lgkmcnt(0)
	s_barrier
	global_load_dwordx4 v[124:127], v[4:5], off offset:3824
	v_addc_co_u32_e32 v13, vcc, 0, v81, vcc
	global_load_dwordx4 v[12:15], v[12:13], off offset:432
	v_add_co_u32_e32 v36, vcc, s3, v80
	s_mov_b64 s[10:11], 0x31b0
	s_nop 0
	v_addc_co_u32_e32 v37, vcc, 0, v81, vcc
	global_load_dwordx4 v[36:39], v[36:37], off offset:1136
	v_lshl_add_u64 v[76:77], v[80:81], 0, s[10:11]
	global_load_dwordx2 v[184:185], v[76:77], off offset:16
	s_mov_b64 s[10:11], 0x4470
	v_lshl_add_u64 v[76:77], v[80:81], 0, s[10:11]
	s_mov_b64 s[10:11], 0x1ef0
	global_load_dwordx2 v[182:183], v[76:77], off offset:16
	v_lshl_add_u64 v[82:83], v[80:81], 0, s[10:11]
	global_load_dwordx2 v[200:201], v[82:83], off offset:16
	v_add_co_u32_e32 v76, vcc, s23, v80
	ds_read2_b64 v[88:91], v197 offset0:16 offset1:216
	s_nop 0
	v_addc_co_u32_e32 v77, vcc, 0, v81, vcc
	global_load_dwordx4 v[76:79], v[76:77], off offset:1840
	ds_read2_b64 v[92:95], v203 offset0:48 offset1:248
	s_mov_b64 s[10:11], 0x5730
	s_mov_b32 s3, 0x8000
	s_mov_b32 s14, 0xbe9e377a
	s_mov_b32 s16, 0xbf4f1bbd
	s_waitcnt vmcnt(6)
	v_mov_b32_e32 v0, v127
	s_waitcnt lgkmcnt(1)
	v_pk_mul_f32 v[82:83], v[88:89], v[0:1] op_sel_hi:[1,0]
	s_waitcnt vmcnt(5)
	v_mov_b32_e32 v0, v15
	v_pk_fma_f32 v[96:97], v[88:89], v[126:127], v[82:83] op_sel:[0,0,1] op_sel_hi:[1,1,0] neg_lo:[0,0,1] neg_hi:[0,0,1]
	v_pk_fma_f32 v[98:99], v[88:89], v[126:127], v[82:83] op_sel:[0,0,1] op_sel_hi:[1,0,0]
	v_pk_mul_f32 v[82:83], v[90:91], v[0:1] op_sel_hi:[1,0]
	v_mov_b32_e32 v97, v99
	v_pk_fma_f32 v[100:101], v[90:91], v[14:15], v[82:83] op_sel:[0,0,1] op_sel_hi:[1,1,0] neg_lo:[0,0,1] neg_hi:[0,0,1]
	v_pk_fma_f32 v[102:103], v[90:91], v[14:15], v[82:83] op_sel:[0,0,1] op_sel_hi:[1,0,0]
	s_waitcnt lgkmcnt(0)
	v_pk_mul_f32 v[82:83], v[92:93], v[12:13] op_sel:[0,1]
	ds_read2_b64 v[88:91], v219 offset1:200
	v_pk_fma_f32 v[104:105], v[92:93], v[12:13], v[82:83] op_sel:[0,0,1] op_sel_hi:[1,1,0] neg_lo:[0,0,1] neg_hi:[0,0,1]
	v_pk_fma_f32 v[106:107], v[92:93], v[12:13], v[82:83] op_sel:[0,0,1] op_sel_hi:[1,0,0]
	s_waitcnt vmcnt(4)
	v_pk_mul_f32 v[82:83], v[94:95], v[36:37] op_sel:[0,1]
	v_mov_b32_e32 v202, v39
	v_pk_fma_f32 v[108:109], v[94:95], v[36:37], v[82:83] op_sel:[0,0,1] op_sel_hi:[1,1,0] neg_lo:[0,0,1] neg_hi:[0,0,1]
	v_pk_fma_f32 v[110:111], v[94:95], v[36:37], v[82:83] op_sel:[0,0,1] op_sel_hi:[1,0,0]
	ds_read2_b64 v[92:95], v229 offset0:32 offset1:232
	s_waitcnt vmcnt(3) lgkmcnt(1)
	v_pk_mul_f32 v[82:83], v[88:89], v[184:185] op_sel:[0,1]
	v_mov_b32_e32 v101, v103
	v_pk_fma_f32 v[112:113], v[88:89], v[184:185], v[82:83] op_sel:[0,0,1] op_sel_hi:[1,1,0] neg_lo:[0,0,1] neg_hi:[0,0,1]
	v_pk_fma_f32 v[114:115], v[88:89], v[184:185], v[82:83] op_sel:[0,0,1] op_sel_hi:[1,0,0]
	s_waitcnt vmcnt(2)
	v_pk_mul_f32 v[82:83], v[90:91], v[182:183] op_sel:[0,1]
	v_mov_b32_e32 v105, v107
	v_pk_fma_f32 v[116:117], v[90:91], v[182:183], v[82:83] op_sel:[0,0,1] op_sel_hi:[1,1,0] neg_lo:[0,0,1] neg_hi:[0,0,1]
	v_pk_fma_f32 v[118:119], v[90:91], v[182:183], v[82:83] op_sel:[0,0,1] op_sel_hi:[1,0,0]
	s_waitcnt lgkmcnt(0)
	v_pk_mul_f32 v[82:83], v[92:93], v[202:203] op_sel_hi:[1,0]
	ds_read2_b64 v[88:91], v191 offset1:200
	v_pk_fma_f32 v[120:121], v[92:93], v[38:39], v[82:83] op_sel:[0,0,1] op_sel_hi:[1,1,0] neg_lo:[0,0,1] neg_hi:[0,0,1]
	v_pk_fma_f32 v[122:123], v[92:93], v[38:39], v[82:83] op_sel:[0,0,1] op_sel_hi:[1,0,0]
	v_lshl_add_u64 v[82:83], v[80:81], 0, s[10:11]
	global_load_dwordx2 v[222:223], v[82:83], off offset:16
	s_waitcnt vmcnt(1)
	v_mov_b32_e32 v220, v79
	v_pk_mul_f32 v[82:83], v[94:95], v[220:221] op_sel_hi:[1,0]
	s_mov_b64 s[10:11], 0x69f0
	v_pk_fma_f32 v[232:233], v[94:95], v[78:79], v[82:83] op_sel:[0,0,1] op_sel_hi:[1,1,0] neg_lo:[0,0,1] neg_hi:[0,0,1]
	v_pk_fma_f32 v[94:95], v[94:95], v[78:79], v[82:83] op_sel:[0,0,1] op_sel_hi:[1,0,0]
	v_add_co_u32_e32 v82, vcc, s20, v80
	s_waitcnt lgkmcnt(0)
	v_pk_mul_f32 v[92:93], v[88:89], v[76:77] op_sel:[0,1]
	v_addc_co_u32_e32 v83, vcc, 0, v81, vcc
	v_lshl_add_u64 v[80:81], v[80:81], 0, s[10:11]
	global_load_dwordx2 v[226:227], v[80:81], off offset:16
	s_nop 0
	global_load_dwordx4 v[80:83], v[82:83], off offset:2544
	v_pk_fma_f32 v[234:235], v[88:89], v[76:77], v[92:93] op_sel:[0,0,1] op_sel_hi:[1,1,0] neg_lo:[0,0,1] neg_hi:[0,0,1]
	v_pk_fma_f32 v[224:225], v[88:89], v[76:77], v[92:93] op_sel:[0,0,1] op_sel_hi:[1,0,0]
	v_mov_b32_e32 v113, v115
	v_mov_b32_e32 v109, v111
	;; [unrolled: 1-line block ×6, first 2 shown]
	v_accvgpr_write_b32 a4, v15
	v_add_u32_e32 v15, 0x6a00, v130
	s_mov_b64 s[10:11], 0x7d00
	s_waitcnt vmcnt(0)
	v_pk_mul_f32 v[88:89], v[90:91], v[80:81] op_sel:[0,1]
	s_nop 0
	v_pk_fma_f32 v[236:237], v[90:91], v[80:81], v[88:89] op_sel:[0,0,1] op_sel_hi:[1,1,0] neg_lo:[0,0,1] neg_hi:[0,0,1]
	v_pk_fma_f32 v[238:239], v[90:91], v[80:81], v[88:89] op_sel:[0,0,1] op_sel_hi:[1,0,0]
	ds_read2_b64 v[88:91], v199 offset0:48 offset1:248
	v_mov_b32_e32 v224, v83
	v_mov_b32_e32 v237, v239
	s_waitcnt lgkmcnt(0)
	v_pk_mul_f32 v[92:93], v[90:91], v[200:201] op_sel:[0,1]
	s_nop 0
	v_pk_fma_f32 v[240:241], v[90:91], v[200:201], v[92:93] op_sel:[0,0,1] op_sel_hi:[1,1,0] neg_lo:[0,0,1] neg_hi:[0,0,1]
	v_pk_fma_f32 v[92:93], v[90:91], v[200:201], v[92:93] op_sel:[0,0,1] op_sel_hi:[1,0,0]
	v_pk_mul_f32 v[90:91], v[88:89], v[224:225] op_sel_hi:[1,0]
	v_mov_b32_e32 v241, v93
	v_pk_fma_f32 v[242:243], v[88:89], v[82:83], v[90:91] op_sel:[0,0,1] op_sel_hi:[1,1,0] neg_lo:[0,0,1] neg_hi:[0,0,1]
	v_pk_fma_f32 v[244:245], v[88:89], v[82:83], v[90:91] op_sel:[0,0,1] op_sel_hi:[1,0,0]
	ds_read2_b64 v[88:91], v195 offset0:16 offset1:216
	v_mov_b32_e32 v243, v245
	s_waitcnt lgkmcnt(0)
	v_pk_mul_f32 v[246:247], v[88:89], v[222:223] op_sel:[0,1]
	s_nop 0
	v_pk_fma_f32 v[248:249], v[88:89], v[222:223], v[246:247] op_sel:[0,0,1] op_sel_hi:[1,1,0] neg_lo:[0,0,1] neg_hi:[0,0,1]
	v_pk_fma_f32 v[246:247], v[88:89], v[222:223], v[246:247] op_sel:[0,0,1] op_sel_hi:[1,0,0]
	v_pk_mul_f32 v[88:89], v[90:91], v[226:227] op_sel:[0,1]
	v_mov_b32_e32 v249, v247
	v_pk_fma_f32 v[250:251], v[90:91], v[226:227], v[88:89] op_sel:[0,0,1] op_sel_hi:[1,1,0] neg_lo:[0,0,1] neg_hi:[0,0,1]
	v_pk_fma_f32 v[252:253], v[90:91], v[226:227], v[88:89] op_sel:[0,0,1] op_sel_hi:[1,0,0]
	ds_read2_b64 v[88:91], v193 offset0:32 offset1:232
	v_pk_add_f32 v[94:95], v[234:235], v[248:249] neg_lo:[0,1] neg_hi:[0,1]
	v_mov_b32_e32 v251, v253
	s_waitcnt lgkmcnt(0)
	v_pk_mul_f32 v[254:255], v[90:91], v[124:125] op_sel:[0,1]
	s_nop 0
	v_pk_fma_f32 v[0:1], v[90:91], v[124:125], v[254:255] op_sel:[0,0,1] op_sel_hi:[1,1,0] neg_lo:[0,0,1] neg_hi:[0,0,1]
	v_pk_fma_f32 v[2:3], v[90:91], v[124:125], v[254:255] op_sel:[0,0,1] op_sel_hi:[1,0,0]
	ds_read2_b64 v[90:93], v130 offset1:200
	v_mov_b32_e32 v1, v3
	s_waitcnt lgkmcnt(0)
	v_pk_add_f32 v[2:3], v[90:91], v[96:97] neg_lo:[0,1] neg_hi:[0,1]
	s_nop 0
	v_pk_fma_f32 v[98:99], v[90:91], 2.0, v[2:3] op_sel_hi:[1,0,1] neg_lo:[0,0,1] neg_hi:[0,0,1]
	v_pk_add_f32 v[90:91], v[0:1], v[240:241] neg_lo:[0,1] neg_hi:[0,1]
	v_pk_add_f32 v[96:97], v[92:93], v[100:101] neg_lo:[0,1] neg_hi:[0,1]
	v_pk_fma_f32 v[0:1], v[0:1], 2.0, v[90:91] op_sel_hi:[1,0,1] neg_lo:[0,0,1] neg_hi:[0,0,1]
	v_pk_add_f32 v[102:103], v[2:3], v[90:91] op_sel:[0,1] op_sel_hi:[1,0] neg_lo:[0,1] neg_hi:[0,1]
	v_pk_add_f32 v[90:91], v[2:3], v[90:91] op_sel:[0,1] op_sel_hi:[1,0]
	v_pk_add_f32 v[0:1], v[98:99], v[0:1] neg_lo:[0,1] neg_hi:[0,1]
	v_mov_b32_e32 v103, v91
	v_pk_fma_f32 v[2:3], v[2:3], 2.0, v[102:103] op_sel_hi:[1,0,1] neg_lo:[0,0,1] neg_hi:[0,0,1]
	v_pk_fma_f32 v[100:101], v[92:93], 2.0, v[96:97] op_sel_hi:[1,0,1] neg_lo:[0,0,1] neg_hi:[0,0,1]
	ds_read2_b64 v[90:93], v205 offset0:16 offset1:216
	ds_write_b64 v130, v[2:3] offset:8000
	v_pk_fma_f32 v[2:3], v[98:99], 2.0, v[0:1] op_sel_hi:[1,0,1] neg_lo:[0,0,1] neg_hi:[0,0,1]
	ds_write_b64 v130, v[0:1] offset:16000
	ds_write_b64 v130, v[102:103] offset:24000
	v_pk_add_f32 v[0:1], v[104:105], v[112:113] neg_lo:[0,1] neg_hi:[0,1]
	s_nop 0
	v_pk_fma_f32 v[98:99], v[104:105], 2.0, v[0:1] op_sel_hi:[1,0,1] neg_lo:[0,0,1] neg_hi:[0,0,1]
	s_nop 0
	v_pk_add_f32 v[98:99], v[100:101], v[98:99] neg_lo:[0,1] neg_hi:[0,1]
	s_nop 0
	v_pk_fma_f32 v[100:101], v[100:101], 2.0, v[98:99] op_sel_hi:[1,0,1] neg_lo:[0,0,1] neg_hi:[0,0,1]
	ds_write2_b64 v130, v[2:3], v[100:101] offset1:200
	v_pk_add_f32 v[2:3], v[96:97], v[0:1] op_sel:[0,1] op_sel_hi:[1,0] neg_lo:[0,1] neg_hi:[0,1]
	v_pk_add_f32 v[0:1], v[96:97], v[0:1] op_sel:[0,1] op_sel_hi:[1,0]
	ds_write_b64 v130, v[98:99] offset:17600
	v_mov_b32_e32 v3, v1
	v_pk_fma_f32 v[0:1], v[96:97], 2.0, v[2:3] op_sel_hi:[1,0,1] neg_lo:[0,0,1] neg_hi:[0,0,1]
	ds_write_b64 v130, v[2:3] offset:25600
	s_waitcnt lgkmcnt(6)
	v_pk_add_f32 v[2:3], v[90:91], v[120:121] neg_lo:[0,1] neg_hi:[0,1]
	v_pk_add_f32 v[96:97], v[108:109], v[116:117] neg_lo:[0,1] neg_hi:[0,1]
	s_nop 0
	v_pk_add_f32 v[98:99], v[2:3], v[96:97] op_sel:[0,1] op_sel_hi:[1,0] neg_lo:[0,1] neg_hi:[0,1]
	v_pk_add_f32 v[100:101], v[2:3], v[96:97] op_sel:[0,1] op_sel_hi:[1,0]
	s_nop 0
	v_mov_b32_e32 v99, v101
	v_pk_fma_f32 v[100:101], v[2:3], 2.0, v[98:99] op_sel_hi:[1,0,1] neg_lo:[0,0,1] neg_hi:[0,0,1]
	v_pk_fma_f32 v[2:3], v[90:91], 2.0, v[2:3] op_sel_hi:[1,0,1] neg_lo:[0,0,1] neg_hi:[0,0,1]
	v_pk_add_f32 v[90:91], v[92:93], v[232:233] neg_lo:[0,1] neg_hi:[0,1]
	ds_write2_b64 v203, v[0:1], v[100:101] offset0:48 offset1:248
	v_pk_fma_f32 v[0:1], v[108:109], 2.0, v[96:97] op_sel_hi:[1,0,1] neg_lo:[0,0,1] neg_hi:[0,0,1]
	v_pk_fma_f32 v[92:93], v[92:93], 2.0, v[90:91] op_sel_hi:[1,0,1] neg_lo:[0,0,1] neg_hi:[0,0,1]
	;; [unrolled: 1-line block ×3, first 2 shown]
	v_pk_add_f32 v[0:1], v[2:3], v[0:1] neg_lo:[0,1] neg_hi:[0,1]
	v_pk_add_f32 v[96:97], v[92:93], v[96:97] neg_lo:[0,1] neg_hi:[0,1]
	v_pk_fma_f32 v[2:3], v[2:3], 2.0, v[0:1] op_sel_hi:[1,0,1] neg_lo:[0,0,1] neg_hi:[0,0,1]
	v_pk_fma_f32 v[92:93], v[92:93], 2.0, v[96:97] op_sel_hi:[1,0,1] neg_lo:[0,0,1] neg_hi:[0,0,1]
	ds_write2_b64 v205, v[2:3], v[92:93] offset0:16 offset1:216
	ds_write2_b64 v229, v[0:1], v[96:97] offset0:32 offset1:232
	v_pk_add_f32 v[0:1], v[88:89], v[242:243] neg_lo:[0,1] neg_hi:[0,1]
	v_pk_add_f32 v[92:93], v[90:91], v[94:95] op_sel:[0,1] op_sel_hi:[1,0]
	v_pk_fma_f32 v[2:3], v[88:89], 2.0, v[0:1] op_sel_hi:[1,0,1] neg_lo:[0,0,1] neg_hi:[0,0,1]
	v_pk_add_f32 v[88:89], v[90:91], v[94:95] op_sel:[0,1] op_sel_hi:[1,0] neg_lo:[0,1] neg_hi:[0,1]
	s_nop 0
	v_mov_b32_e32 v89, v93
	ds_write2_b64 v15, v[98:99], v[88:89] offset0:8 offset1:208
	v_pk_fma_f32 v[88:89], v[90:91], 2.0, v[88:89] op_sel_hi:[1,0,1] neg_lo:[0,0,1] neg_hi:[0,0,1]
	v_pk_add_f32 v[90:91], v[236:237], v[250:251] neg_lo:[0,1] neg_hi:[0,1]
	s_nop 0
	v_pk_add_f32 v[92:93], v[0:1], v[90:91] op_sel:[0,1] op_sel_hi:[1,0] neg_lo:[0,1] neg_hi:[0,1]
	v_pk_add_f32 v[94:95], v[0:1], v[90:91] op_sel:[0,1] op_sel_hi:[1,0]
	s_nop 0
	v_mov_b32_e32 v93, v95
	v_pk_fma_f32 v[0:1], v[0:1], 2.0, v[92:93] op_sel_hi:[1,0,1] neg_lo:[0,0,1] neg_hi:[0,0,1]
	ds_write2_b64 v191, v[88:89], v[0:1] offset1:200
	v_pk_fma_f32 v[0:1], v[236:237], 2.0, v[90:91] op_sel_hi:[1,0,1] neg_lo:[0,0,1] neg_hi:[0,0,1]
	v_add_co_u32_e32 v88, vcc, s3, v84
	v_pk_add_f32 v[0:1], v[2:3], v[0:1] neg_lo:[0,1] neg_hi:[0,1]
	s_nop 0
	v_addc_co_u32_e32 v89, vcc, 0, v85, vcc
	v_pk_fma_f32 v[2:3], v[2:3], 2.0, v[0:1] op_sel_hi:[1,0,1] neg_lo:[0,0,1] neg_hi:[0,0,1]
	ds_write_b64 v130, v[2:3] offset:6400
	ds_write_b64 v130, v[0:1] offset:22400
	ds_write_b64 v130, v[92:93] offset:30400
	s_waitcnt lgkmcnt(0)
	s_barrier
	global_load_dwordx2 v[86:87], v[86:87], off offset:3328
	v_lshl_add_u64 v[0:1], v[84:85], 0, s[10:11]
	global_load_dwordx2 v[2:3], v[0:1], off offset:1600
	s_nop 0
	global_load_dwordx2 v[0:1], v[0:1], off offset:3200
	s_mov_b32 s3, 0x9000
	global_load_dwordx2 v[94:95], v[88:89], off offset:4032
	v_add_co_u32_e32 v88, vcc, s3, v84
	s_mov_b32 s3, 0xa000
	s_nop 0
	v_addc_co_u32_e32 v89, vcc, 0, v85, vcc
	global_load_dwordx2 v[96:97], v[88:89], off offset:1536
	global_load_dwordx2 v[98:99], v[88:89], off offset:3136
	v_add_co_u32_e32 v88, vcc, s3, v84
	s_mov_b32 s3, 0xe000
	s_nop 0
	v_addc_co_u32_e32 v89, vcc, 0, v85, vcc
	global_load_dwordx2 v[100:101], v[88:89], off offset:640
	global_load_dwordx2 v[102:103], v[88:89], off offset:2240
	;; [unrolled: 1-line block ×3, first 2 shown]
	ds_read2_b64 v[88:91], v130 offset1:200
	s_mov_b32 s10, s2
	s_mov_b32 s11, s6
	s_waitcnt vmcnt(8) lgkmcnt(0)
	v_mul_f32_e32 v4, v89, v87
	v_mul_f32_e32 v93, v88, v87
	v_fma_f32 v92, v88, v86, -v4
	v_fmac_f32_e32 v93, v89, v86
	ds_write_b64 v130, v[92:93]
	ds_read2_b64 v[86:89], v205 offset0:16 offset1:216
	s_waitcnt vmcnt(7)
	v_mul_f32_e32 v4, v91, v3
	v_mul_f32_e32 v107, v90, v3
	v_fma_f32 v106, v90, v2, -v4
	v_fmac_f32_e32 v107, v91, v2
	s_waitcnt vmcnt(6) lgkmcnt(0)
	v_mul_f32_e32 v2, v87, v1
	v_mul_f32_e32 v3, v86, v1
	v_fma_f32 v2, v86, v0, -v2
	v_fmac_f32_e32 v3, v87, v0
	v_add_co_u32_e32 v0, vcc, s3, v84
	s_mov_b32 s3, 0xf000
	s_nop 0
	v_addc_co_u32_e32 v1, vcc, 0, v85, vcc
	ds_read2_b64 v[90:93], v193 offset0:32 offset1:232
	v_add_co_u32_e32 v86, vcc, s3, v84
	s_waitcnt vmcnt(5)
	v_mul_f32_e32 v4, v89, v95
	v_addc_co_u32_e32 v87, vcc, 0, v85, vcc
	v_mul_f32_e32 v113, v88, v95
	global_load_dwordx2 v[108:109], v[86:87], off offset:960
	global_load_dwordx2 v[110:111], v[0:1], off offset:3456
	v_fma_f32 v112, v88, v94, -v4
	v_fmac_f32_e32 v113, v89, v94
	ds_read2_b64 v[86:89], v203 offset0:48 offset1:248
	s_waitcnt vmcnt(6) lgkmcnt(1)
	v_mul_f32_e32 v4, v91, v97
	v_mul_f32_e32 v95, v90, v97
	v_fma_f32 v94, v90, v96, -v4
	v_fmac_f32_e32 v95, v91, v96
	s_waitcnt vmcnt(5)
	v_mul_f32_e32 v4, v93, v99
	v_mul_f32_e32 v91, v92, v99
	s_mov_b32 s3, 0xb000
	v_fma_f32 v90, v92, v98, -v4
	v_fmac_f32_e32 v91, v93, v98
	s_waitcnt vmcnt(4) lgkmcnt(0)
	v_mul_f32_e32 v4, v87, v101
	v_add_co_u32_e32 v98, vcc, s3, v84
	v_fma_f32 v92, v86, v100, -v4
	v_mul_f32_e32 v93, v86, v101
	s_waitcnt vmcnt(3)
	v_mul_f32_e32 v4, v89, v103
	v_mul_f32_e32 v97, v88, v103
	v_addc_co_u32_e32 v99, vcc, 0, v85, vcc
	v_fmac_f32_e32 v93, v87, v100
	v_fma_f32 v96, v88, v102, -v4
	v_fmac_f32_e32 v97, v89, v102
	ds_read2_b64 v[86:89], v191 offset1:200
	global_load_dwordx2 v[100:101], v[98:99], off offset:1344
	s_mov_b32 s3, 0xc000
	global_load_dwordx2 v[98:99], v[98:99], off offset:2944
	s_waitcnt vmcnt(4) lgkmcnt(0)
	v_mul_f32_e32 v4, v87, v105
	v_mul_f32_e32 v103, v86, v105
	v_fma_f32 v102, v86, v104, -v4
	v_fmac_f32_e32 v103, v87, v104
	v_add_co_u32_e32 v104, vcc, s3, v84
	s_mov_b32 s3, 0xd000
	s_nop 0
	v_addc_co_u32_e32 v105, vcc, 0, v85, vcc
	global_load_dwordx2 v[114:115], v[104:105], off offset:448
	global_load_dwordx2 v[116:117], v[104:105], off offset:2048
	v_add_co_u32_e32 v84, vcc, s3, v84
	s_waitcnt vmcnt(3)
	v_mul_f32_e32 v4, v89, v101
	v_mul_f32_e32 v119, v88, v101
	v_fma_f32 v118, v88, v100, -v4
	v_fmac_f32_e32 v119, v89, v100
	ds_read2_b64 v[86:89], v197 offset0:16 offset1:216
	v_addc_co_u32_e32 v85, vcc, 0, v85, vcc
	s_waitcnt vmcnt(2) lgkmcnt(0)
	v_mul_f32_e32 v4, v87, v99
	v_fma_f32 v100, v86, v98, -v4
	v_mul_f32_e32 v101, v86, v99
	s_waitcnt vmcnt(1)
	v_mul_f32_e32 v4, v89, v115
	v_mul_f32_e32 v99, v88, v115
	v_fmac_f32_e32 v101, v87, v98
	v_fma_f32 v98, v88, v114, -v4
	v_fmac_f32_e32 v99, v89, v114
	ds_read2_b64 v[86:89], v229 offset0:32 offset1:232
	s_waitcnt vmcnt(0) lgkmcnt(0)
	v_mul_f32_e32 v4, v87, v117
	v_mul_f32_e32 v115, v86, v117
	v_fma_f32 v114, v86, v116, -v4
	v_fmac_f32_e32 v115, v87, v116
	global_load_dwordx2 v[86:87], v[104:105], off offset:3648
	s_nop 0
	global_load_dwordx2 v[104:105], v[84:85], off offset:1152
	global_load_dwordx2 v[116:117], v[84:85], off offset:2752
	;; [unrolled: 1-line block ×3, first 2 shown]
	s_waitcnt vmcnt(3)
	v_mul_f32_e32 v4, v89, v87
	global_load_dwordx2 v[0:1], v[0:1], off offset:1856
	v_mul_f32_e32 v123, v88, v87
	v_fma_f32 v122, v88, v86, -v4
	v_fmac_f32_e32 v123, v89, v86
	ds_read2_b64 v[84:87], v199 offset0:48 offset1:248
	s_waitcnt vmcnt(3) lgkmcnt(0)
	v_mul_f32_e32 v4, v85, v105
	v_fma_f32 v88, v84, v104, -v4
	v_mul_f32_e32 v89, v84, v105
	s_waitcnt vmcnt(2)
	v_mul_f32_e32 v4, v87, v117
	v_mul_f32_e32 v105, v86, v117
	v_fmac_f32_e32 v89, v85, v104
	v_fma_f32 v104, v86, v116, -v4
	v_fmac_f32_e32 v105, v87, v116
	ds_read2_b64 v[84:87], v219 offset1:200
	s_waitcnt vmcnt(1) lgkmcnt(0)
	v_mul_f32_e32 v4, v85, v121
	v_fma_f32 v116, v84, v120, -v4
	v_mul_f32_e32 v117, v84, v121
	v_fmac_f32_e32 v117, v85, v120
	s_waitcnt vmcnt(0)
	v_mul_f32_e32 v4, v87, v1
	v_mul_f32_e32 v121, v86, v1
	v_fma_f32 v120, v86, v0, -v4
	v_fmac_f32_e32 v121, v87, v0
	ds_read2_b64 v[84:87], v195 offset0:16 offset1:216
	s_waitcnt lgkmcnt(0)
	v_mul_f32_e32 v0, v85, v111
	v_mul_f32_e32 v4, v87, v109
	v_fma_f32 v0, v84, v110, -v0
	v_mul_f32_e32 v1, v84, v111
	v_fma_f32 v84, v86, v108, -v4
	v_add_u32_e32 v4, 0x600, v130
	ds_write2_b64 v4, v[106:107], v[2:3] offset0:8 offset1:208
	v_add_u32_e32 v2, 0x1200, v130
	ds_write2_b64 v2, v[112:113], v[94:95] offset0:24 offset1:224
	v_add_u32_e32 v2, 0x1e00, v130
	ds_write2_b64 v2, v[90:91], v[92:93] offset0:40 offset1:240
	v_add_u32_e32 v2, 0x2b00, v130
	ds_write2_b64 v2, v[96:97], v[102:103] offset0:24 offset1:224
	v_add_u32_e32 v2, 0x3800, v130
	ds_write2_b64 v2, v[118:119], v[100:101] offset0:8 offset1:208
	v_add_u32_e32 v2, 0x4400, v130
	v_fmac_f32_e32 v1, v85, v110
	v_mul_f32_e32 v85, v86, v109
	ds_write2_b64 v2, v[98:99], v[114:115] offset0:24 offset1:224
	v_add_u32_e32 v2, 0x5000, v130
	v_fmac_f32_e32 v85, v87, v108
	ds_write2_b64 v2, v[122:123], v[88:89] offset0:40 offset1:240
	v_add_u32_e32 v2, 0x5d00, v130
	ds_write2_b64 v2, v[104:105], v[116:117] offset0:24 offset1:224
	ds_write2_b64 v15, v[120:121], v[0:1] offset0:8 offset1:208
	ds_write_b64 v130, v[84:85] offset:30400
	s_waitcnt lgkmcnt(0)
	s_barrier
	ds_read2_b64 v[84:87], v193 offset0:32 offset1:232
	ds_read2_b64 v[88:91], v191 offset1:200
	ds_read2_b64 v[96:99], v229 offset0:32 offset1:232
	ds_read2_b64 v[100:103], v219 offset1:200
	ds_read2_b64 v[92:95], v130 offset1:200
	s_waitcnt lgkmcnt(3)
	v_pk_add_f32 v[0:1], v[84:85], v[88:89] neg_lo:[0,1] neg_hi:[0,1]
	s_waitcnt lgkmcnt(2)
	v_pk_add_f32 v[238:239], v[88:89], v[96:97] neg_lo:[0,1] neg_hi:[0,1]
	s_waitcnt lgkmcnt(1)
	v_pk_add_f32 v[2:3], v[100:101], v[96:97] neg_lo:[0,1] neg_hi:[0,1]
	v_pk_add_f32 v[236:237], v[84:85], v[100:101] neg_lo:[0,1] neg_hi:[0,1]
	v_pk_add_f32 v[4:5], v[0:1], v[2:3]
	v_pk_add_f32 v[2:3], v[88:89], v[96:97]
	v_pk_mul_f32 v[104:105], v[236:237], s[6:7] op_sel_hi:[1,0]
	s_waitcnt lgkmcnt(0)
	v_pk_fma_f32 v[2:3], v[2:3], 0.5, v[92:93] op_sel_hi:[1,0,1] neg_lo:[1,0,0] neg_hi:[1,0,0]
	s_nop 0
	v_pk_add_f32 v[106:107], v[2:3], v[104:105] op_sel:[0,1] op_sel_hi:[1,0] neg_lo:[0,1] neg_hi:[0,1]
	v_pk_add_f32 v[2:3], v[2:3], v[104:105] op_sel:[0,1] op_sel_hi:[1,0]
	v_pk_mul_f32 v[104:105], v[238:239], s[8:9] op_sel_hi:[1,0]
	s_nop 0
	v_pk_add_f32 v[2:3], v[2:3], v[104:105] op_sel:[0,1] op_sel_hi:[1,0]
	v_pk_add_f32 v[240:241], v[106:107], v[104:105] op_sel:[0,1] op_sel_hi:[1,0] neg_lo:[0,1] neg_hi:[0,1]
	ds_read2_b64 v[108:111], v203 offset0:48 offset1:248
	ds_read2_b64 v[104:107], v197 offset0:16 offset1:216
	;; [unrolled: 1-line block ×4, first 2 shown]
	s_waitcnt lgkmcnt(2)
	v_pk_add_f32 v[116:117], v[108:109], v[104:105] neg_lo:[0,1] neg_hi:[0,1]
	s_waitcnt lgkmcnt(0)
	v_pk_add_f32 v[118:119], v[112:113], v[120:121] neg_lo:[0,1] neg_hi:[0,1]
	v_pk_add_f32 v[232:233], v[104:105], v[120:121]
	v_pk_add_f32 v[242:243], v[116:117], v[118:119]
	ds_read2_b64 v[116:119], v205 offset0:16 offset1:216
	v_pk_add_f32 v[244:245], v[108:109], v[112:113] neg_lo:[0,1] neg_hi:[0,1]
	v_pk_add_f32 v[248:249], v[104:105], v[120:121] neg_lo:[0,1] neg_hi:[0,1]
	v_pk_mul_f32 v[234:235], v[244:245], s[6:7] op_sel_hi:[1,0]
	s_waitcnt lgkmcnt(0)
	v_pk_fma_f32 v[232:233], v[232:233], 0.5, v[116:117] op_sel_hi:[1,0,1] neg_lo:[1,0,0] neg_hi:[1,0,0]
	s_barrier
	v_pk_add_f32 v[246:247], v[232:233], v[234:235] op_sel:[0,1] op_sel_hi:[1,0]
	v_pk_add_f32 v[232:233], v[232:233], v[234:235] op_sel:[0,1] op_sel_hi:[1,0] neg_lo:[0,1] neg_hi:[0,1]
	v_pk_mul_f32 v[234:235], v[248:249], s[8:9] op_sel_hi:[1,0]
	s_nop 0
	v_pk_add_f32 v[246:247], v[234:235], v[246:247] op_sel:[1,0] op_sel_hi:[0,1]
	v_pk_add_f32 v[250:251], v[232:233], v[234:235] op_sel:[0,1] op_sel_hi:[1,0] neg_lo:[0,1] neg_hi:[0,1]
	v_mov_b32_e32 v232, v240
	v_mov_b32_e32 v233, v3
	v_pk_fma_f32 v[252:253], v[4:5], s[2:3], v[232:233] op_sel_hi:[1,0,1]
	v_pk_fma_f32 v[254:255], v[242:243], s[2:3], v[246:247] op_sel_hi:[1,0,1]
	s_mov_b32 s3, s8
	v_mov_b32_e32 v246, v250
	v_pk_fma_f32 v[232:233], v[242:243], s[2:3], v[246:247] op_sel_hi:[1,0,1]
	s_nop 0
	v_pk_mul_f32 v[234:235], v[232:233], s[8:9] op_sel_hi:[1,0]
	s_nop 0
	v_pk_fma_f32 v[246:247], v[232:233], s[12:13], v[234:235] op_sel:[0,0,1] op_sel_hi:[1,0,0] neg_lo:[0,0,1] neg_hi:[0,0,1]
	v_pk_fma_f32 v[232:233], v[232:233], s[12:13], v[234:235] op_sel:[0,0,1] op_sel_hi:[1,0,0]
	s_nop 0
	v_mov_b32_e32 v247, v233
	v_pk_add_f32 v[232:233], v[92:93], v[84:85]
	v_pk_add_f32 v[234:235], v[252:253], v[246:247]
	v_pk_add_f32 v[232:233], v[232:233], v[88:89]
	v_pk_add_f32 v[88:89], v[88:89], v[84:85] neg_lo:[0,1] neg_hi:[0,1]
	v_pk_add_f32 v[232:233], v[232:233], v[96:97]
	v_pk_add_f32 v[84:85], v[84:85], v[100:101]
	v_pk_add_f32 v[0:1], v[232:233], v[100:101]
	v_pk_add_f32 v[232:233], v[116:117], v[108:109]
	v_pk_add_f32 v[96:97], v[96:97], v[100:101] neg_lo:[0,1] neg_hi:[0,1]
	v_pk_add_f32 v[232:233], v[232:233], v[104:105]
	v_pk_fma_f32 v[84:85], v[84:85], 0.5, v[92:93] op_sel_hi:[1,0,1] neg_lo:[1,0,0] neg_hi:[1,0,0]
	v_pk_add_f32 v[232:233], v[232:233], v[120:121]
	v_pk_mul_f32 v[92:93], v[238:239], s[6:7] op_sel_hi:[1,0]
	v_pk_add_f32 v[6:7], v[232:233], v[112:113]
	v_pk_add_f32 v[88:89], v[88:89], v[96:97]
	;; [unrolled: 1-line block ×3, first 2 shown]
	ds_write_b128 v209, v[232:235]
	v_mov_b32_e32 v232, v104
	v_mov_b32_e32 v233, v120
	;; [unrolled: 1-line block ×4, first 2 shown]
	v_pk_add_f32 v[232:233], v[232:233], v[234:235] neg_lo:[0,1] neg_hi:[0,1]
	v_mov_b32_e32 v120, v109
	v_mov_b32_e32 v104, v233
	v_pk_add_f32 v[232:233], v[232:233], v[104:105]
	v_mov_b32_e32 v104, v105
	v_mov_b32_e32 v105, v121
	;; [unrolled: 1-line block ×3, first 2 shown]
	v_pk_add_f32 v[104:105], v[104:105], v[120:121] neg_lo:[0,1] neg_hi:[0,1]
	v_pk_add_f32 v[108:109], v[108:109], v[112:113]
	v_mov_b32_e32 v120, v105
	v_pk_add_f32 v[104:105], v[104:105], v[120:121]
	v_mov_b32_e32 v233, v245
	v_fma_f32 v3, -0.5, v108, v116
	v_pk_add_f32 v[96:97], v[84:85], v[92:93] op_sel:[0,1] op_sel_hi:[1,0]
	v_pk_add_f32 v[84:85], v[84:85], v[92:93] op_sel:[0,1] op_sel_hi:[1,0] neg_lo:[0,1] neg_hi:[0,1]
	v_pk_mul_f32 v[92:93], v[236:237], s[8:9] op_sel_hi:[1,0]
	v_mov_b32_e32 v105, v244
	v_fma_f32 v11, -0.5, v109, v117
	v_fmamk_f32 v23, v249, 0x3f737871, v3
	v_fmac_f32_e32 v3, 0xbf737871, v249
	v_pk_add_f32 v[84:85], v[84:85], v[92:93] op_sel:[0,1] op_sel_hi:[1,0]
	v_pk_add_f32 v[92:93], v[96:97], v[92:93] op_sel:[0,1] op_sel_hi:[1,0] neg_lo:[0,1] neg_hi:[0,1]
	v_pk_mul_f32 v[96:97], v[232:233], s[2:3]
	v_fmamk_f32 v39, v248, 0xbf737871, v11
	v_fmac_f32_e32 v11, 0x3f737871, v248
	v_sub_f32_e32 v23, v23, v97
	v_pk_mul_f32 v[100:101], v[104:105], s[2:3]
	v_add_f32_e32 v3, v97, v3
	v_add_f32_e32 v39, v101, v39
	;; [unrolled: 1-line block ×4, first 2 shown]
	v_sub_f32_e32 v3, v11, v101
	s_mov_b32 s7, s2
	v_add_f32_e32 v104, v100, v39
	v_add_f32_e32 v100, v100, v3
	v_pk_mul_f32 v[100:101], v[100:101], s[6:7] op_sel_hi:[0,1]
	v_pk_mul_f32 v[104:105], v[104:105], s[6:7] op_sel_hi:[0,1]
	v_pk_fma_f32 v[96:97], v[96:97], s[14:15], v[100:101] op_sel_hi:[0,1,1] neg_lo:[0,0,1] neg_hi:[0,0,1]
	v_mov_b32_e32 v100, v92
	v_mov_b32_e32 v101, v85
	;; [unrolled: 1-line block ×3, first 2 shown]
	v_pk_fma_f32 v[112:113], v[108:109], s[10:11], v[104:105] neg_lo:[0,0,1] neg_hi:[0,0,1]
	v_pk_fma_f32 v[104:105], v[108:109], s[10:11], v[104:105] op_sel_hi:[0,1,1]
	v_pk_fma_f32 v[92:93], v[88:89], s[2:3], v[100:101] op_sel_hi:[1,0,1]
	;; [unrolled: 1-line block ×4, first 2 shown]
	v_mov_b32_e32 v3, v241
	v_mov_b32_e32 v113, v105
	v_pk_fma_f32 v[2:3], v[4:5], s[2:3], v[2:3] op_sel_hi:[1,0,1]
	v_pk_mul_f32 v[4:5], v[88:89], s[8:9] op_sel:[1,0]
	v_pk_add_f32 v[232:233], v[92:93], v[112:113]
	v_pk_add_f32 v[234:235], v[84:85], v[96:97]
	v_pk_fma_f32 v[4:5], v[254:255], s[16:17], v[4:5] op_sel_hi:[0,1,1] neg_lo:[0,0,1] neg_hi:[0,0,1]
	ds_write_b128 v209, v[232:235] offset:16
	v_pk_add_f32 v[234:235], v[0:1], v[6:7] neg_lo:[0,1] neg_hi:[0,1]
	v_pk_add_f32 v[232:233], v[2:3], v[4:5]
	ds_write_b128 v209, v[232:235] offset:32
	v_pk_add_f32 v[232:233], v[252:253], v[246:247] neg_lo:[0,1] neg_hi:[0,1]
	v_pk_add_f32 v[234:235], v[92:93], v[112:113] neg_lo:[0,1] neg_hi:[0,1]
	v_pk_add_f32 v[0:1], v[94:95], v[86:87]
	v_pk_add_f32 v[100:101], v[118:119], v[110:111]
	ds_write_b128 v209, v[232:235] offset:48
	v_pk_add_f32 v[232:233], v[84:85], v[96:97] neg_lo:[0,1] neg_hi:[0,1]
	v_pk_add_f32 v[234:235], v[2:3], v[4:5] neg_lo:[0,1] neg_hi:[0,1]
	v_pk_add_f32 v[0:1], v[0:1], v[90:91]
	v_pk_add_f32 v[2:3], v[90:91], v[98:99]
	v_pk_add_f32 v[4:5], v[90:91], v[98:99] neg_lo:[0,1] neg_hi:[0,1]
	v_pk_add_f32 v[6:7], v[86:87], v[90:91] neg_lo:[0,1] neg_hi:[0,1]
	v_pk_add_f32 v[88:89], v[90:91], v[86:87] neg_lo:[0,1] neg_hi:[0,1]
	v_pk_add_f32 v[90:91], v[86:87], v[102:103] neg_lo:[0,1] neg_hi:[0,1]
	v_pk_add_f32 v[84:85], v[102:103], v[98:99] neg_lo:[0,1] neg_hi:[0,1]
	v_pk_add_f32 v[100:101], v[100:101], v[106:107]
	v_pk_add_f32 v[0:1], v[0:1], v[98:99]
	v_pk_add_f32 v[100:101], v[100:101], v[122:123]
	v_pk_add_f32 v[6:7], v[6:7], v[84:85]
	v_pk_fma_f32 v[2:3], v[2:3], 0.5, v[94:95] op_sel_hi:[1,0,1] neg_lo:[1,0,0] neg_hi:[1,0,0]
	v_pk_mul_f32 v[84:85], v[90:91], s[6:7] op_sel_hi:[1,0]
	v_pk_add_f32 v[92:93], v[86:87], v[102:103]
	v_pk_add_f32 v[96:97], v[98:99], v[102:103] neg_lo:[0,1] neg_hi:[0,1]
	v_pk_add_f32 v[0:1], v[0:1], v[102:103]
	v_pk_add_f32 v[86:87], v[110:111], v[114:115]
	v_pk_add_f32 v[104:105], v[110:111], v[114:115] neg_lo:[0,1] neg_hi:[0,1]
	v_pk_add_f32 v[116:117], v[106:107], v[122:123]
	v_pk_add_f32 v[120:121], v[114:115], v[122:123] neg_lo:[0,1] neg_hi:[0,1]
	v_mov_b32_e32 v99, v114
	v_pk_add_f32 v[100:101], v[100:101], v[114:115]
	v_mov_b32_e32 v103, v115
	v_pk_add_f32 v[114:115], v[2:3], v[84:85] op_sel:[0,1] op_sel_hi:[1,0] neg_lo:[0,1] neg_hi:[0,1]
	v_pk_add_f32 v[2:3], v[2:3], v[84:85] op_sel:[0,1] op_sel_hi:[1,0]
	v_pk_mul_f32 v[84:85], v[4:5], s[8:9] op_sel_hi:[1,0]
	v_mov_b32_e32 v98, v110
	v_pk_add_f32 v[108:109], v[110:111], v[106:107] neg_lo:[0,1] neg_hi:[0,1]
	v_mov_b32_e32 v110, v106
	v_mov_b32_e32 v112, v107
	v_pk_add_f32 v[106:107], v[106:107], v[122:123] neg_lo:[0,1] neg_hi:[0,1]
	v_fma_f32 v11, -0.5, v86, v118
	v_fma_f32 v23, -0.5, v87, v119
	v_pk_fma_f32 v[86:87], v[116:117], 0.5, v[118:119] op_sel_hi:[1,0,1] neg_lo:[1,0,0] neg_hi:[1,0,0]
	v_pk_add_f32 v[2:3], v[2:3], v[84:85] op_sel:[0,1] op_sel_hi:[1,0]
	v_pk_add_f32 v[114:115], v[114:115], v[84:85] op_sel:[0,1] op_sel_hi:[1,0] neg_lo:[0,1] neg_hi:[0,1]
	v_pk_mul_f32 v[84:85], v[104:105], s[6:7] op_sel_hi:[1,0]
	v_pk_add_f32 v[108:109], v[108:109], v[120:121]
	v_pk_add_f32 v[116:117], v[86:87], v[84:85] op_sel:[0,1] op_sel_hi:[1,0]
	v_pk_add_f32 v[84:85], v[86:87], v[84:85] op_sel:[0,1] op_sel_hi:[1,0] neg_lo:[0,1] neg_hi:[0,1]
	v_pk_mul_f32 v[86:87], v[106:107], s[8:9] op_sel_hi:[1,0]
	v_mov_b32_e32 v102, v111
	v_pk_add_f32 v[116:117], v[86:87], v[116:117] op_sel:[1,0] op_sel_hi:[0,1]
	v_pk_add_f32 v[118:119], v[84:85], v[86:87] op_sel:[0,1] op_sel_hi:[1,0] neg_lo:[0,1] neg_hi:[0,1]
	v_pk_fma_f32 v[120:121], v[108:109], s[2:3], v[116:117] op_sel_hi:[1,0,1]
	v_mov_b32_e32 v116, v118
	v_pk_fma_f32 v[84:85], v[108:109], s[2:3], v[116:117] op_sel_hi:[1,0,1]
	v_mov_b32_e32 v111, v122
	v_pk_mul_f32 v[86:87], v[84:85], s[8:9] op_sel_hi:[1,0]
	v_mov_b32_e32 v113, v123
	v_pk_fma_f32 v[116:117], v[84:85], s[12:13], v[86:87] op_sel:[0,0,1] op_sel_hi:[1,0,0] neg_lo:[0,0,1] neg_hi:[0,0,1]
	v_pk_fma_f32 v[84:85], v[84:85], s[12:13], v[86:87] op_sel:[0,0,1] op_sel_hi:[1,0,0]
	ds_write_b128 v209, v[232:235] offset:64
	v_mov_b32_e32 v117, v85
	v_mov_b32_e32 v84, v114
	;; [unrolled: 1-line block ×3, first 2 shown]
	v_pk_fma_f32 v[122:123], v[6:7], s[2:3], v[84:85] op_sel_hi:[1,0,1]
	v_pk_add_f32 v[84:85], v[0:1], v[100:101]
	v_pk_add_f32 v[86:87], v[122:123], v[116:117]
	ds_write_b128 v129, v[84:87]
	v_pk_add_f32 v[86:87], v[110:111], v[98:99] neg_lo:[0,1] neg_hi:[0,1]
	v_pk_fma_f32 v[84:85], v[92:93], 0.5, v[94:95] op_sel_hi:[1,0,1] neg_lo:[1,0,0] neg_hi:[1,0,0]
	v_mov_b32_e32 v92, v87
	v_pk_add_f32 v[86:87], v[86:87], v[92:93]
	v_pk_add_f32 v[92:93], v[112:113], v[102:103] neg_lo:[0,1] neg_hi:[0,1]
	v_mov_b32_e32 v87, v105
	v_mov_b32_e32 v94, v93
	v_pk_add_f32 v[92:93], v[92:93], v[94:95]
	v_fmamk_f32 v3, v107, 0x3f737871, v11
	v_pk_mul_f32 v[4:5], v[4:5], s[6:7] op_sel_hi:[1,0]
	v_pk_mul_f32 v[86:87], v[86:87], s[2:3]
	v_mov_b32_e32 v93, v104
	v_fmac_f32_e32 v11, 0xbf737871, v107
	v_pk_add_f32 v[94:95], v[84:85], v[4:5] op_sel:[0,1] op_sel_hi:[1,0]
	v_pk_add_f32 v[4:5], v[84:85], v[4:5] op_sel:[0,1] op_sel_hi:[1,0] neg_lo:[0,1] neg_hi:[0,1]
	v_pk_mul_f32 v[84:85], v[90:91], s[8:9] op_sel_hi:[1,0]
	v_sub_f32_e32 v3, v3, v87
	v_fmamk_f32 v39, v106, 0xbf737871, v23
	v_fmac_f32_e32 v23, 0x3f737871, v106
	v_pk_add_f32 v[4:5], v[4:5], v[84:85] op_sel:[0,1] op_sel_hi:[1,0]
	v_pk_add_f32 v[84:85], v[94:95], v[84:85] op_sel:[0,1] op_sel_hi:[1,0] neg_lo:[0,1] neg_hi:[0,1]
	v_pk_mul_f32 v[90:91], v[92:93], s[2:3]
	v_add_f32_e32 v94, v86, v3
	v_add_f32_e32 v3, v87, v11
	;; [unrolled: 1-line block ×4, first 2 shown]
	v_sub_f32_e32 v3, v23, v91
	v_add_f32_e32 v92, v90, v39
	v_add_f32_e32 v90, v90, v3
	v_pk_mul_f32 v[92:93], v[92:93], s[6:7] op_sel_hi:[0,1]
	v_pk_mul_f32 v[90:91], v[90:91], s[6:7] op_sel_hi:[0,1]
	v_pk_add_f32 v[88:89], v[88:89], v[96:97]
	v_pk_fma_f32 v[96:97], v[94:95], s[10:11], v[92:93] neg_lo:[0,0,1] neg_hi:[0,0,1]
	v_pk_fma_f32 v[92:93], v[94:95], s[10:11], v[92:93] op_sel_hi:[0,1,1]
	v_pk_fma_f32 v[90:91], v[86:87], s[14:15], v[90:91] op_sel_hi:[0,1,1] neg_lo:[0,0,1] neg_hi:[0,0,1]
	v_mov_b32_e32 v86, v84
	v_mov_b32_e32 v87, v5
	;; [unrolled: 1-line block ×4, first 2 shown]
	v_pk_fma_f32 v[92:93], v[88:89], s[2:3], v[86:87] op_sel_hi:[1,0,1]
	v_pk_fma_f32 v[4:5], v[88:89], s[2:3], v[4:5] op_sel_hi:[1,0,1]
	v_pk_add_f32 v[84:85], v[92:93], v[96:97]
	v_pk_add_f32 v[86:87], v[4:5], v[90:91]
	ds_write_b128 v129, v[84:87] offset:16
	v_pk_fma_f32 v[84:85], v[108:109], s[2:3], v[118:119] op_sel_hi:[1,0,1]
	v_mov_b32_e32 v3, v115
	v_pk_fma_f32 v[2:3], v[6:7], s[2:3], v[2:3] op_sel_hi:[1,0,1]
	v_pk_mul_f32 v[6:7], v[84:85], s[8:9] op_sel:[1,0]
	v_pk_add_f32 v[86:87], v[0:1], v[100:101] neg_lo:[0,1] neg_hi:[0,1]
	v_pk_fma_f32 v[6:7], v[120:121], s[16:17], v[6:7] op_sel_hi:[0,1,1] neg_lo:[0,0,1] neg_hi:[0,0,1]
	v_pk_add_f32 v[84:85], v[2:3], v[6:7]
	ds_write_b128 v129, v[84:87] offset:32
	v_pk_add_f32 v[84:85], v[122:123], v[116:117] neg_lo:[0,1] neg_hi:[0,1]
	v_pk_add_f32 v[86:87], v[92:93], v[96:97] neg_lo:[0,1] neg_hi:[0,1]
	ds_write_b128 v129, v[84:87] offset:48
	v_pk_add_f32 v[84:85], v[4:5], v[90:91] neg_lo:[0,1] neg_hi:[0,1]
	v_pk_add_f32 v[86:87], v[2:3], v[6:7] neg_lo:[0,1] neg_hi:[0,1]
	ds_write_b128 v129, v[84:87] offset:64
	s_waitcnt lgkmcnt(0)
	s_barrier
	ds_read2_b64 v[88:91], v193 offset0:32 offset1:232
	ds_read2_b64 v[92:95], v205 offset0:16 offset1:216
	ds_read2_b64 v[98:101], v191 offset1:200
	ds_read2_b64 v[102:105], v203 offset0:48 offset1:248
	s_waitcnt lgkmcnt(3)
	v_pk_mul_f32 v[0:1], v[228:229], v[90:91] op_sel_hi:[0,1]
	v_pk_fma_f32 v[84:85], v[22:23], v[90:91], v[0:1] op_sel:[0,0,1] op_sel_hi:[1,1,0]
	v_pk_fma_f32 v[86:87], v[22:23], v[90:91], v[0:1] op_sel:[0,0,1] op_sel_hi:[0,1,0] neg_lo:[0,0,1] neg_hi:[0,0,1]
	s_waitcnt lgkmcnt(2)
	v_pk_mul_f32 v[0:1], v[20:21], v[94:95] op_sel:[1,0]
	s_waitcnt lgkmcnt(1)
	v_pk_mul_f32 v[2:3], v[212:213], v[100:101] op_sel_hi:[0,1]
	v_pk_fma_f32 v[22:23], v[20:21], v[94:95], v[0:1] op_sel:[0,0,1] op_sel_hi:[0,1,0]
	v_pk_fma_f32 v[20:21], v[20:21], v[94:95], v[0:1] op_sel:[0,0,1] op_sel_hi:[0,1,0] neg_lo:[0,0,1] neg_hi:[0,0,1]
	v_pk_mul_f32 v[0:1], v[132:133], v[92:93] op_sel:[1,0]
	v_mov_b32_e32 v85, v87
	v_pk_fma_f32 v[4:5], v[132:133], v[92:93], v[0:1] op_sel:[0,0,1] op_sel_hi:[0,1,0]
	v_pk_fma_f32 v[92:93], v[132:133], v[92:93], v[0:1] op_sel:[0,0,1] op_sel_hi:[0,1,0] neg_lo:[0,0,1] neg_hi:[0,0,1]
	v_pk_mul_f32 v[0:1], v[206:207], v[88:89] op_sel_hi:[0,1]
	v_pk_fma_f32 v[96:97], v[134:135], v[88:89], v[0:1] op_sel:[0,0,1] op_sel_hi:[1,1,0]
	v_pk_fma_f32 v[6:7], v[134:135], v[88:89], v[0:1] op_sel:[0,0,1] op_sel_hi:[0,1,0] neg_lo:[0,0,1] neg_hi:[0,0,1]
	v_pk_fma_f32 v[0:1], v[30:31], v[100:101], v[2:3] op_sel:[0,0,1] op_sel_hi:[1,1,0]
	v_pk_fma_f32 v[88:89], v[30:31], v[100:101], v[2:3] op_sel:[0,0,1] op_sel_hi:[0,1,0] neg_lo:[0,0,1] neg_hi:[0,0,1]
	s_waitcnt lgkmcnt(0)
	v_pk_mul_f32 v[2:3], v[28:29], v[104:105] op_sel:[1,0]
	v_mov_b32_e32 v6, v47
	v_pk_fma_f32 v[30:31], v[28:29], v[104:105], v[2:3] op_sel:[0,0,1] op_sel_hi:[1,1,0]
	v_pk_fma_f32 v[28:29], v[28:29], v[104:105], v[2:3] op_sel:[0,0,1] op_sel_hi:[0,1,0] neg_lo:[0,0,1] neg_hi:[0,0,1]
	v_pk_mul_f32 v[2:3], v[16:17], v[102:103] op_sel:[1,0]
	ds_read2_b64 v[104:107], v197 offset0:16 offset1:216
	v_pk_fma_f32 v[110:111], v[16:17], v[102:103], v[2:3] op_sel:[0,0,1] op_sel_hi:[1,1,0]
	v_pk_fma_f32 v[112:113], v[16:17], v[102:103], v[2:3] op_sel:[0,0,1] op_sel_hi:[0,1,0] neg_lo:[0,0,1] neg_hi:[0,0,1]
	ds_read2_b64 v[100:103], v229 offset0:32 offset1:232
	v_pk_mul_f32 v[2:3], v[196:197], v[98:99] op_sel_hi:[0,1]
	v_pk_fma_f32 v[114:115], v[18:19], v[98:99], v[2:3] op_sel:[0,0,1] op_sel_hi:[1,1,0]
	v_pk_fma_f32 v[116:117], v[18:19], v[98:99], v[2:3] op_sel:[0,0,1] op_sel_hi:[0,1,0] neg_lo:[0,0,1] neg_hi:[0,0,1]
	v_mov_b32_e32 v97, v7
	s_waitcnt lgkmcnt(0)
	v_pk_mul_f32 v[16:17], v[204:205], v[102:103] op_sel_hi:[0,1]
	v_pk_fma_f32 v[2:3], v[34:35], v[102:103], v[16:17] op_sel:[0,0,1] op_sel_hi:[1,1,0]
	v_pk_fma_f32 v[90:91], v[34:35], v[102:103], v[16:17] op_sel:[0,0,1] op_sel_hi:[0,1,0] neg_lo:[0,0,1] neg_hi:[0,0,1]
	v_pk_mul_f32 v[16:17], v[32:33], v[106:107] op_sel:[1,0]
	v_mov_b32_e32 v5, v93
	v_pk_fma_f32 v[34:35], v[32:33], v[106:107], v[16:17] op_sel:[0,0,1] op_sel_hi:[1,1,0]
	v_pk_fma_f32 v[32:33], v[32:33], v[106:107], v[16:17] op_sel:[0,0,1] op_sel_hi:[0,1,0] neg_lo:[0,0,1] neg_hi:[0,0,1]
	v_pk_mul_f32 v[16:17], v[24:25], v[104:105] op_sel:[1,0]
	ds_read2_b64 v[106:109], v199 offset0:48 offset1:248
	v_pk_fma_f32 v[118:119], v[24:25], v[104:105], v[16:17] op_sel:[0,0,1] op_sel_hi:[1,1,0]
	v_pk_fma_f32 v[120:121], v[24:25], v[104:105], v[16:17] op_sel:[0,0,1] op_sel_hi:[0,1,0] neg_lo:[0,0,1] neg_hi:[0,0,1]
	ds_read2_b64 v[102:105], v219 offset1:200
	v_pk_mul_f32 v[16:17], v[190:191], v[100:101] op_sel_hi:[0,1]
	v_pk_fma_f32 v[122:123], v[26:27], v[100:101], v[16:17] op_sel:[0,0,1] op_sel_hi:[1,1,0]
	v_pk_fma_f32 v[132:133], v[26:27], v[100:101], v[16:17] op_sel:[0,0,1] op_sel_hi:[0,1,0] neg_lo:[0,0,1] neg_hi:[0,0,1]
	ds_read2_b64 v[98:101], v195 offset0:16 offset1:216
	s_waitcnt lgkmcnt(1)
	v_pk_mul_f32 v[18:19], v[194:195], v[104:105] op_sel_hi:[0,1]
	v_pk_fma_f32 v[16:17], v[58:59], v[104:105], v[18:19] op_sel:[0,0,1] op_sel_hi:[1,1,0]
	v_pk_fma_f32 v[94:95], v[58:59], v[104:105], v[18:19] op_sel:[0,0,1] op_sel_hi:[0,1,0] neg_lo:[0,0,1] neg_hi:[0,0,1]
	v_pk_mul_f32 v[18:19], v[56:57], v[108:109] op_sel:[1,0]
	v_pk_mul_f32 v[24:25], v[44:45], v[106:107] op_sel:[1,0]
	v_pk_fma_f32 v[58:59], v[56:57], v[108:109], v[18:19] op_sel:[0,0,1] op_sel_hi:[1,1,0]
	v_pk_fma_f32 v[18:19], v[56:57], v[108:109], v[18:19] op_sel:[0,0,1] op_sel_hi:[0,1,0] neg_lo:[0,0,1] neg_hi:[0,0,1]
	v_pk_fma_f32 v[56:57], v[44:45], v[106:107], v[24:25] op_sel:[0,0,1] op_sel_hi:[1,1,0]
	v_pk_fma_f32 v[104:105], v[44:45], v[106:107], v[24:25] op_sel:[0,0,1] op_sel_hi:[0,1,0] neg_lo:[0,0,1] neg_hi:[0,0,1]
	v_pk_mul_f32 v[24:25], v[6:7], v[102:103] op_sel_hi:[0,1]
	v_pk_fma_f32 v[106:107], v[46:47], v[102:103], v[24:25] op_sel:[0,0,1] op_sel_hi:[1,1,0]
	v_pk_fma_f32 v[44:45], v[46:47], v[102:103], v[24:25] op_sel:[0,0,1] op_sel_hi:[0,1,0] neg_lo:[0,0,1] neg_hi:[0,0,1]
	s_waitcnt lgkmcnt(0)
	v_pk_mul_f32 v[24:25], v[174:175], v[100:101] op_sel:[1,0]
	v_pk_mul_f32 v[46:47], v[172:173], v[98:99] op_sel:[1,0]
	v_pk_fma_f32 v[26:27], v[174:175], v[100:101], v[24:25] op_sel:[0,0,1] op_sel_hi:[1,1,0]
	v_pk_fma_f32 v[24:25], v[174:175], v[100:101], v[24:25] op_sel:[0,0,1] op_sel_hi:[0,1,0] neg_lo:[0,0,1] neg_hi:[0,0,1]
	v_pk_fma_f32 v[100:101], v[172:173], v[98:99], v[46:47] op_sel:[0,0,1] op_sel_hi:[1,1,0]
	v_mov_b32_e32 v6, v110
	v_mov_b32_e32 v7, v100
	;; [unrolled: 1-line block ×5, first 2 shown]
	v_pk_add_f32 v[44:45], v[6:7], v[102:103] neg_lo:[0,1] neg_hi:[0,1]
	v_mov_b32_e32 v111, v113
	v_mov_b32_e32 v18, v45
	v_pk_fma_f32 v[98:99], v[172:173], v[98:99], v[46:47] op_sel:[0,0,1] op_sel_hi:[0,1,0] neg_lo:[0,0,1] neg_hi:[0,0,1]
	v_pk_add_f32 v[108:109], v[44:45], v[18:19]
	v_mov_b32_e32 v119, v121
	v_pk_add_f32 v[44:45], v[4:5], v[110:111]
	v_mov_b32_e32 v57, v105
	;; [unrolled: 2-line block ×3, first 2 shown]
	v_mov_b32_e32 v104, v121
	v_mov_b32_e32 v115, v117
	v_pk_add_f32 v[116:117], v[118:119], v[56:57]
	v_pk_add_f32 v[118:119], v[118:119], v[56:57] neg_lo:[0,1] neg_hi:[0,1]
	v_pk_add_f32 v[56:57], v[44:45], v[56:57]
	v_pk_add_f32 v[44:45], v[98:99], v[104:105] neg_lo:[0,1] neg_hi:[0,1]
	v_mov_b32_e32 v123, v133
	v_mov_b32_e32 v18, v45
	v_pk_add_f32 v[112:113], v[44:45], v[18:19]
	ds_read2_b64 v[44:47], v130 offset1:200
	v_pk_add_f32 v[120:121], v[96:97], v[114:115] neg_lo:[0,1] neg_hi:[0,1]
	v_pk_add_f32 v[132:133], v[106:107], v[122:123] neg_lo:[0,1] neg_hi:[0,1]
	v_mov_b32_e32 v101, v99
	v_pk_add_f32 v[120:121], v[120:121], v[132:133]
	v_pk_add_f32 v[132:133], v[114:115], v[122:123]
	v_pk_add_f32 v[134:135], v[96:97], v[106:107] neg_lo:[0,1] neg_hi:[0,1]
	v_fma_f32 v1, -0.5, v116, v4
	v_fma_f32 v3, -0.5, v117, v93
	v_pk_add_f32 v[116:117], v[110:111], v[100:101] neg_lo:[0,1] neg_hi:[0,1]
	v_mov_b32_e32 v113, v118
	s_waitcnt lgkmcnt(0)
	v_pk_fma_f32 v[132:133], v[132:133], 0.5, v[44:45] op_sel_hi:[1,0,1] neg_lo:[1,0,0] neg_hi:[1,0,0]
	v_pk_mul_f32 v[172:173], v[134:135], s[6:7] op_sel_hi:[1,0]
	v_mov_b32_e32 v109, v119
	v_pk_mul_f32 v[112:113], v[112:113], s[2:3]
	v_fmamk_f32 v11, v116, 0x3f737871, v3
	v_pk_add_f32 v[174:175], v[132:133], v[172:173] op_sel:[0,1] op_sel_hi:[1,0] neg_lo:[0,1] neg_hi:[0,1]
	v_pk_add_f32 v[132:133], v[132:133], v[172:173] op_sel:[0,1] op_sel_hi:[1,0]
	v_pk_add_f32 v[172:173], v[114:115], v[122:123] neg_lo:[0,1] neg_hi:[0,1]
	v_pk_mul_f32 v[108:109], v[108:109], s[2:3]
	v_fmamk_f32 v5, v117, 0xbf737871, v1
	v_add_f32_e32 v11, v113, v11
	v_pk_mul_f32 v[232:233], v[172:173], s[8:9] op_sel_hi:[1,0]
	v_sub_f32_e32 v5, v5, v109
	v_add_f32_e32 v18, v112, v11
	v_pk_add_f32 v[132:133], v[132:133], v[232:233] op_sel:[0,1] op_sel_hi:[1,0]
	v_pk_add_f32 v[174:175], v[174:175], v[232:233] op_sel:[0,1] op_sel_hi:[1,0] neg_lo:[0,1] neg_hi:[0,1]
	v_pk_mul_f32 v[232:233], v[18:19], s[8:9] op_sel_hi:[0,1]
	v_add_f32_e32 v18, v108, v5
	v_pk_add_f32 v[6:7], v[102:103], v[6:7] neg_lo:[0,1] neg_hi:[0,1]
	v_pk_fma_f32 v[234:235], v[18:19], s[12:13], v[232:233] neg_lo:[0,0,1] neg_hi:[0,0,1]
	v_pk_fma_f32 v[232:233], v[18:19], s[12:13], v[232:233] op_sel_hi:[0,1,1]
	v_mov_b32_e32 v18, v7
	v_mov_b32_e32 v11, v4
	v_pk_add_f32 v[4:5], v[104:105], v[98:99] neg_lo:[0,1] neg_hi:[0,1]
	v_pk_add_f32 v[56:57], v[56:57], v[100:101]
	v_pk_add_f32 v[100:101], v[110:111], v[100:101]
	v_pk_add_f32 v[6:7], v[6:7], v[18:19]
	v_mov_b32_e32 v18, v5
	v_fmac_f32_e32 v11, -0.5, v100
	v_pk_add_f32 v[4:5], v[4:5], v[18:19]
	v_mov_b32_e32 v7, v117
	v_fmamk_f32 v5, v119, 0x3f737871, v11
	v_pk_mul_f32 v[6:7], v[6:7], s[2:3]
	v_fmac_f32_e32 v93, -0.5, v101
	v_sub_f32_e32 v20, v5, v7
	v_mov_b32_e32 v5, v116
	v_fmamk_f32 v17, v118, 0xbf737871, v93
	v_pk_mul_f32 v[4:5], v[4:5], s[2:3]
	v_pk_add_f32 v[98:99], v[114:115], v[96:97] neg_lo:[0,1] neg_hi:[0,1]
	v_add_f32_e32 v17, v5, v17
	v_pk_add_f32 v[100:101], v[122:123], v[106:107] neg_lo:[0,1] neg_hi:[0,1]
	v_add_f32_e32 v18, v4, v17
	v_mov_b32_e32 v235, v233
	v_pk_add_f32 v[232:233], v[44:45], v[96:97]
	v_fmac_f32_e32 v93, 0x3f737871, v118
	v_pk_add_f32 v[96:97], v[96:97], v[106:107]
	v_pk_add_f32 v[98:99], v[98:99], v[100:101]
	v_pk_mul_f32 v[100:101], v[18:19], s[6:7] op_sel_hi:[0,1]
	v_add_f32_e32 v18, v6, v20
	v_fmac_f32_e32 v11, 0xbf737871, v119
	v_pk_fma_f32 v[102:103], v[18:19], s[10:11], v[100:101] neg_lo:[0,0,1] neg_hi:[0,0,1]
	v_pk_fma_f32 v[100:101], v[18:19], s[10:11], v[100:101] op_sel_hi:[0,1,1]
	v_pk_fma_f32 v[44:45], v[96:97], 0.5, v[44:45] op_sel_hi:[1,0,1] neg_lo:[1,0,0] neg_hi:[1,0,0]
	v_pk_mul_f32 v[96:97], v[172:173], s[6:7] op_sel_hi:[1,0]
	v_sub_f32_e32 v5, v93, v5
	v_mov_b32_e32 v103, v101
	v_pk_add_f32 v[100:101], v[44:45], v[96:97] op_sel:[0,1] op_sel_hi:[1,0]
	v_pk_add_f32 v[44:45], v[44:45], v[96:97] op_sel:[0,1] op_sel_hi:[1,0] neg_lo:[0,1] neg_hi:[0,1]
	v_pk_mul_f32 v[96:97], v[134:135], s[8:9] op_sel_hi:[1,0]
	v_add_f32_e32 v7, v7, v11
	v_add_f32_e32 v4, v4, v5
	v_pk_add_f32 v[44:45], v[44:45], v[96:97] op_sel:[0,1] op_sel_hi:[1,0]
	v_pk_add_f32 v[96:97], v[100:101], v[96:97] op_sel:[0,1] op_sel_hi:[1,0] neg_lo:[0,1] neg_hi:[0,1]
	v_add_f32_e32 v6, v6, v7
	v_pk_mul_f32 v[4:5], v[4:5], s[6:7] op_sel_hi:[0,1]
	v_fmac_f32_e32 v1, 0x3f737871, v117
	v_pk_fma_f32 v[4:5], v[6:7], s[14:15], v[4:5] op_sel_hi:[0,1,1] neg_lo:[0,0,1] neg_hi:[0,0,1]
	v_mov_b32_e32 v6, v96
	v_mov_b32_e32 v7, v45
	;; [unrolled: 1-line block ×3, first 2 shown]
	v_fmac_f32_e32 v3, 0xbf737871, v116
	v_add_f32_e32 v1, v109, v1
	v_pk_fma_f32 v[6:7], v[98:99], s[2:3], v[6:7] op_sel_hi:[1,0,1]
	v_pk_fma_f32 v[44:45], v[98:99], s[2:3], v[44:45] op_sel_hi:[1,0,1]
	v_add_f32_e32 v18, v108, v1
	v_sub_f32_e32 v1, v3, v113
	v_pk_add_f32 v[232:233], v[232:233], v[114:115]
	v_pk_add_f32 v[92:93], v[6:7], v[102:103]
	v_pk_add_f32 v[96:97], v[44:45], v[4:5]
	v_add_f32_e32 v20, v112, v1
	v_pk_add_f32 v[232:233], v[232:233], v[122:123]
	s_barrier
	v_mov_b32_e32 v237, v133
	ds_write2_b64 v207, v[92:93], v[96:97] offset0:20 offset1:30
	v_pk_mul_f32 v[92:93], v[20:21], s[8:9] op_sel_hi:[0,1]
	v_mov_b32_e32 v133, v175
	v_pk_add_f32 v[232:233], v[232:233], v[106:107]
	v_mov_b32_e32 v236, v174
	v_pk_fma_f32 v[92:93], v[18:19], s[16:17], v[92:93] op_sel_hi:[0,1,1] neg_lo:[0,0,1] neg_hi:[0,0,1]
	v_pk_fma_f32 v[96:97], v[120:121], s[2:3], v[132:133] op_sel_hi:[1,0,1]
	v_pk_fma_f32 v[236:237], v[120:121], s[2:3], v[236:237] op_sel_hi:[1,0,1]
	v_pk_add_f32 v[238:239], v[232:233], v[56:57]
	v_pk_add_f32 v[56:57], v[232:233], v[56:57] neg_lo:[0,1] neg_hi:[0,1]
	v_pk_add_f32 v[98:99], v[96:97], v[92:93]
	ds_write2_b64 v207, v[98:99], v[56:57] offset0:40 offset1:50
	v_pk_add_f32 v[56:57], v[236:237], v[234:235] neg_lo:[0,1] neg_hi:[0,1]
	v_pk_add_f32 v[6:7], v[6:7], v[102:103] neg_lo:[0,1] neg_hi:[0,1]
	ds_write2_b64 v207, v[56:57], v[6:7] offset0:60 offset1:70
	v_pk_add_f32 v[4:5], v[44:45], v[4:5] neg_lo:[0,1] neg_hi:[0,1]
	v_pk_add_f32 v[6:7], v[96:97], v[92:93] neg_lo:[0,1] neg_hi:[0,1]
	v_mov_b32_e32 v1, v89
	v_mov_b32_e32 v3, v91
	;; [unrolled: 1-line block ×3, first 2 shown]
	ds_write2_b64 v207, v[4:5], v[6:7] offset0:80 offset1:90
	v_pk_add_f32 v[4:5], v[84:85], v[0:1] neg_lo:[0,1] neg_hi:[0,1]
	v_pk_add_f32 v[6:7], v[16:17], v[2:3] neg_lo:[0,1] neg_hi:[0,1]
	v_mov_b32_e32 v44, v34
	v_pk_add_f32 v[4:5], v[4:5], v[6:7]
	v_mov_b32_e32 v6, v30
	v_mov_b32_e32 v7, v26
	;; [unrolled: 1-line block ×3, first 2 shown]
	v_pk_add_f32 v[56:57], v[6:7], v[44:45] neg_lo:[0,1] neg_hi:[0,1]
	v_mov_b32_e32 v23, v21
	v_mov_b32_e32 v18, v57
	v_pk_add_f32 v[56:57], v[56:57], v[18:19]
	v_mov_b32_e32 v31, v29
	v_mov_b32_e32 v24, v29
	;; [unrolled: 1-line block ×5, first 2 shown]
	v_pk_add_f32 v[86:87], v[22:23], v[30:31]
	v_pk_add_f32 v[28:29], v[24:25], v[18:19] neg_lo:[0,1] neg_hi:[0,1]
	v_pk_add_f32 v[86:87], v[86:87], v[34:35]
	v_pk_add_f32 v[88:89], v[34:35], v[58:59]
	v_pk_add_f32 v[34:35], v[34:35], v[58:59] neg_lo:[0,1] neg_hi:[0,1]
	v_mov_b32_e32 v20, v29
	v_pk_add_f32 v[28:29], v[28:29], v[20:21]
	v_mov_b32_e32 v27, v25
	v_mov_b32_e32 v57, v35
	v_fma_f32 v20, -0.5, v89, v21
	v_pk_mul_f32 v[32:33], v[56:57], s[2:3]
	v_pk_add_f32 v[56:57], v[30:31], v[26:27] neg_lo:[0,1] neg_hi:[0,1]
	v_mov_b32_e32 v29, v34
	v_fma_f32 v11, -0.5, v88, v22
	v_pk_mul_f32 v[28:29], v[28:29], s[2:3]
	v_fmamk_f32 v39, v56, 0x3f737871, v20
	v_fmac_f32_e32 v20, 0xbf737871, v56
	v_fmamk_f32 v23, v57, 0xbf737871, v11
	v_fmac_f32_e32 v11, 0x3f737871, v57
	v_sub_f32_e32 v20, v20, v29
	v_add_f32_e32 v11, v33, v11
	v_add_f32_e32 v20, v28, v20
	v_pk_add_f32 v[58:59], v[86:87], v[58:59]
	v_pk_mul_f32 v[86:87], v[20:21], s[8:9] op_sel_hi:[0,1]
	v_add_f32_e32 v20, v32, v11
	v_sub_f32_e32 v11, v23, v33
	v_pk_fma_f32 v[86:87], v[20:21], s[16:17], v[86:87] op_sel_hi:[0,1,1] neg_lo:[0,0,1] neg_hi:[0,0,1]
	v_add_f32_e32 v20, v32, v11
	v_add_f32_e32 v11, v29, v39
	v_pk_add_f32 v[88:89], v[0:1], v[2:3]
	v_add_f32_e32 v28, v28, v11
	v_pk_fma_f32 v[88:89], v[88:89], 0.5, v[46:47] op_sel_hi:[1,0,1] neg_lo:[1,0,0] neg_hi:[1,0,0]
	v_pk_add_f32 v[90:91], v[84:85], v[16:17] neg_lo:[0,1] neg_hi:[0,1]
	v_pk_mul_f32 v[28:29], v[28:29], s[8:9] op_sel_hi:[0,1]
	v_pk_add_f32 v[6:7], v[44:45], v[6:7] neg_lo:[0,1] neg_hi:[0,1]
	v_pk_fma_f32 v[92:93], v[90:91], s[6:7], v[88:89] op_sel:[1,0,0] op_sel_hi:[0,0,1]
	v_pk_fma_f32 v[88:89], v[90:91], s[6:7], v[88:89] op_sel:[1,0,0] op_sel_hi:[0,0,1] neg_lo:[1,0,0] neg_hi:[1,0,0]
	v_pk_add_f32 v[94:95], v[0:1], v[2:3] neg_lo:[0,1] neg_hi:[0,1]
	v_pk_add_f32 v[58:59], v[58:59], v[26:27]
	v_pk_add_f32 v[98:99], v[46:47], v[84:85]
	v_pk_fma_f32 v[32:33], v[20:21], s[12:13], v[28:29] neg_lo:[0,0,1] neg_hi:[0,0,1]
	v_pk_fma_f32 v[28:29], v[20:21], s[12:13], v[28:29] op_sel_hi:[0,1,1]
	v_pk_add_f32 v[26:27], v[30:31], v[26:27]
	v_mov_b32_e32 v20, v7
	v_pk_add_f32 v[18:19], v[18:19], v[24:25] neg_lo:[0,1] neg_hi:[0,1]
	v_pk_fma_f32 v[88:89], v[94:95], s[8:9], v[88:89] op_sel:[1,0,0] op_sel_hi:[0,0,1] neg_lo:[1,0,0] neg_hi:[1,0,0]
	v_pk_fma_f32 v[92:93], v[94:95], s[8:9], v[92:93] op_sel:[1,0,0] op_sel_hi:[0,0,1]
	v_pk_add_f32 v[98:99], v[98:99], v[0:1]
	v_pk_add_f32 v[6:7], v[6:7], v[20:21]
	v_mov_b32_e32 v11, v22
	v_fmac_f32_e32 v21, -0.5, v27
	v_mov_b32_e32 v20, v19
	v_mov_b32_e32 v96, v92
	v_mov_b32_e32 v97, v89
	v_pk_add_f32 v[98:99], v[98:99], v[2:3]
	v_mov_b32_e32 v89, v93
	v_fmac_f32_e32 v11, -0.5, v26
	v_pk_add_f32 v[18:19], v[18:19], v[20:21]
	v_mov_b32_e32 v7, v57
	v_pk_fma_f32 v[96:97], v[4:5], s[2:3], v[96:97] op_sel_hi:[1,0,1]
	v_pk_add_f32 v[98:99], v[98:99], v[16:17]
	v_mov_b32_e32 v33, v29
	v_pk_fma_f32 v[4:5], v[4:5], s[2:3], v[88:89] op_sel_hi:[1,0,1]
	v_mov_b32_e32 v19, v56
	v_fmamk_f32 v23, v35, 0x3f737871, v11
	v_fmac_f32_e32 v11, 0xbf737871, v35
	v_pk_mul_f32 v[6:7], v[6:7], s[2:3]
	v_pk_add_f32 v[240:241], v[236:237], v[234:235]
	v_pk_add_f32 v[100:101], v[98:99], v[58:59] neg_lo:[0,1] neg_hi:[0,1]
	v_pk_add_f32 v[58:59], v[98:99], v[58:59]
	v_pk_add_f32 v[28:29], v[4:5], v[32:33]
	v_fmamk_f32 v24, v34, 0xbf737871, v21
	v_fmac_f32_e32 v21, 0x3f737871, v34
	v_pk_mul_f32 v[18:19], v[18:19], s[2:3]
	v_add_f32_e32 v11, v7, v11
	v_sub_f32_e32 v7, v23, v7
	ds_write2_b64 v207, v[238:239], v[240:241] offset1:10
	ds_write2_b64 v231, v[58:59], v[28:29] offset1:10
	v_pk_add_f32 v[28:29], v[84:85], v[16:17]
	v_sub_f32_e32 v20, v21, v19
	v_add_f32_e32 v22, v6, v11
	v_add_f32_e32 v6, v6, v7
	;; [unrolled: 1-line block ×3, first 2 shown]
	v_pk_fma_f32 v[28:29], v[28:29], 0.5, v[46:47] op_sel_hi:[1,0,1] neg_lo:[1,0,0] neg_hi:[1,0,0]
	v_add_f32_e32 v20, v18, v20
	v_pk_add_f32 v[0:1], v[0:1], v[84:85] neg_lo:[0,1] neg_hi:[0,1]
	v_pk_add_f32 v[2:3], v[2:3], v[16:17] neg_lo:[0,1] neg_hi:[0,1]
	v_add_f32_e32 v18, v18, v7
	v_pk_mul_f32 v[20:21], v[20:21], s[6:7] op_sel_hi:[0,1]
	v_pk_add_f32 v[0:1], v[0:1], v[2:3]
	v_pk_fma_f32 v[2:3], v[94:95], s[6:7], v[28:29] op_sel:[1,0,0] op_sel_hi:[0,0,1] neg_lo:[1,0,0] neg_hi:[1,0,0]
	v_pk_fma_f32 v[16:17], v[94:95], s[6:7], v[28:29] op_sel:[1,0,0] op_sel_hi:[0,0,1]
	v_pk_mul_f32 v[18:19], v[18:19], s[6:7] op_sel_hi:[0,1]
	v_pk_fma_f32 v[20:21], v[22:23], s[14:15], v[20:21] op_sel_hi:[0,1,1] neg_lo:[0,0,1] neg_hi:[0,0,1]
	v_pk_fma_f32 v[16:17], v[90:91], s[8:9], v[16:17] op_sel:[1,0,0] op_sel_hi:[0,0,1] neg_lo:[1,0,0] neg_hi:[1,0,0]
	v_pk_fma_f32 v[2:3], v[90:91], s[8:9], v[2:3] op_sel:[1,0,0] op_sel_hi:[0,0,1]
	v_pk_fma_f32 v[22:23], v[6:7], s[10:11], v[18:19] neg_lo:[0,0,1] neg_hi:[0,0,1]
	v_pk_fma_f32 v[6:7], v[6:7], s[10:11], v[18:19] op_sel_hi:[0,1,1]
	v_mov_b32_e32 v23, v7
	v_mov_b32_e32 v6, v2
	;; [unrolled: 1-line block ×4, first 2 shown]
	v_pk_fma_f32 v[2:3], v[0:1], s[2:3], v[6:7] op_sel_hi:[1,0,1]
	v_pk_fma_f32 v[0:1], v[0:1], s[2:3], v[16:17] op_sel_hi:[1,0,1]
	v_pk_add_f32 v[4:5], v[4:5], v[32:33] neg_lo:[0,1] neg_hi:[0,1]
	v_pk_add_f32 v[16:17], v[0:1], v[22:23]
	v_pk_add_f32 v[0:1], v[0:1], v[22:23] neg_lo:[0,1] neg_hi:[0,1]
	v_pk_add_f32 v[102:103], v[96:97], v[86:87]
	v_pk_add_f32 v[6:7], v[2:3], v[20:21]
	ds_write2_b64 v231, v[4:5], v[0:1] offset0:60 offset1:70
	v_pk_add_f32 v[0:1], v[96:97], v[86:87] neg_lo:[0,1] neg_hi:[0,1]
	v_pk_add_f32 v[2:3], v[2:3], v[20:21] neg_lo:[0,1] neg_hi:[0,1]
	ds_write2_b64 v231, v[102:103], v[100:101] offset0:40 offset1:50
	ds_write2_b64 v231, v[16:17], v[6:7] offset0:20 offset1:30
	;; [unrolled: 1-line block ×3, first 2 shown]
	s_waitcnt lgkmcnt(0)
	s_barrier
	ds_read2_b64 v[20:23], v193 offset0:32 offset1:232
	ds_read2_b64 v[24:27], v205 offset0:16 offset1:216
	;; [unrolled: 1-line block ×3, first 2 shown]
	s_waitcnt lgkmcnt(2)
	v_pk_mul_f32 v[2:3], v[230:231], v[22:23] op_sel_hi:[0,1]
	s_waitcnt lgkmcnt(1)
	v_pk_mul_f32 v[4:5], v[8:9], v[24:25] op_sel:[1,0]
	v_pk_fma_f32 v[0:1], v[42:43], v[22:23], v[2:3] op_sel:[0,0,1] op_sel_hi:[1,1,0]
	v_pk_fma_f32 v[18:19], v[42:43], v[22:23], v[2:3] op_sel:[0,0,1] op_sel_hi:[0,1,0] neg_lo:[0,0,1] neg_hi:[0,0,1]
	v_pk_mul_f32 v[2:3], v[40:41], v[26:27] op_sel:[1,0]
	v_pk_fma_f32 v[6:7], v[8:9], v[24:25], v[4:5] op_sel:[0,0,1] op_sel_hi:[0,1,0]
	v_pk_fma_f32 v[44:45], v[8:9], v[24:25], v[4:5] op_sel:[0,0,1] op_sel_hi:[0,1,0] neg_lo:[0,0,1] neg_hi:[0,0,1]
	ds_read2_b64 v[22:25], v191 offset1:200
	v_pk_fma_f32 v[16:17], v[40:41], v[26:27], v[2:3] op_sel:[0,0,1] op_sel_hi:[0,1,0]
	v_pk_fma_f32 v[2:3], v[40:41], v[26:27], v[2:3] op_sel:[0,0,1] op_sel_hi:[0,1,0] neg_lo:[0,0,1] neg_hi:[0,0,1]
	ds_read2_b64 v[26:29], v203 offset0:48 offset1:248
	v_pk_mul_f32 v[4:5], v[216:217], v[20:21] op_sel_hi:[0,1]
	v_pk_fma_f32 v[56:57], v[10:11], v[20:21], v[4:5] op_sel:[0,0,1] op_sel_hi:[1,1,0]
	v_pk_fma_f32 v[4:5], v[10:11], v[20:21], v[4:5] op_sel:[0,0,1] op_sel_hi:[0,1,0] neg_lo:[0,0,1] neg_hi:[0,0,1]
	s_waitcnt lgkmcnt(1)
	v_pk_mul_f32 v[10:11], v[218:219], v[24:25] op_sel_hi:[0,1]
	v_pk_fma_f32 v[8:9], v[66:67], v[24:25], v[10:11] op_sel:[0,0,1] op_sel_hi:[1,1,0]
	v_pk_fma_f32 v[32:33], v[66:67], v[24:25], v[10:11] op_sel:[0,0,1] op_sel_hi:[0,1,0] neg_lo:[0,0,1] neg_hi:[0,0,1]
	s_waitcnt lgkmcnt(0)
	v_pk_mul_f32 v[10:11], v[64:65], v[28:29] op_sel:[1,0]
	v_mov_b32_e32 v57, v5
	v_pk_fma_f32 v[20:21], v[64:65], v[28:29], v[10:11] op_sel:[0,0,1] op_sel_hi:[1,1,0]
	v_pk_fma_f32 v[30:31], v[64:65], v[28:29], v[10:11] op_sel:[0,0,1] op_sel_hi:[0,1,0] neg_lo:[0,0,1] neg_hi:[0,0,1]
	v_pk_mul_f32 v[10:11], v[48:49], v[26:27] op_sel:[1,0]
	v_mov_b32_e32 v7, v45
	v_pk_fma_f32 v[64:65], v[48:49], v[26:27], v[10:11] op_sel:[0,0,1] op_sel_hi:[1,1,0]
	v_pk_fma_f32 v[58:59], v[48:49], v[26:27], v[10:11] op_sel:[0,0,1] op_sel_hi:[0,1,0] neg_lo:[0,0,1] neg_hi:[0,0,1]
	ds_read2_b64 v[24:27], v229 offset0:32 offset1:232
	ds_read2_b64 v[46:49], v197 offset0:16 offset1:216
	v_pk_mul_f32 v[10:11], v[210:211], v[22:23] op_sel_hi:[0,1]
	v_pk_fma_f32 v[90:91], v[50:51], v[22:23], v[10:11] op_sel:[0,0,1] op_sel_hi:[1,1,0]
	v_pk_fma_f32 v[92:93], v[50:51], v[22:23], v[10:11] op_sel:[0,0,1] op_sel_hi:[0,1,0] neg_lo:[0,0,1] neg_hi:[0,0,1]
	s_waitcnt lgkmcnt(1)
	v_pk_mul_f32 v[22:23], v[214:215], v[26:27] op_sel_hi:[0,1]
	v_pk_fma_f32 v[10:11], v[70:71], v[26:27], v[22:23] op_sel:[0,0,1] op_sel_hi:[1,1,0]
	v_pk_fma_f32 v[42:43], v[70:71], v[26:27], v[22:23] op_sel:[0,0,1] op_sel_hi:[0,1,0] neg_lo:[0,0,1] neg_hi:[0,0,1]
	ds_read2_b64 v[26:29], v219 offset1:200
	s_waitcnt lgkmcnt(1)
	v_pk_mul_f32 v[22:23], v[68:69], v[48:49] op_sel:[1,0]
	v_mov_b32_e32 v4, v64
	v_pk_fma_f32 v[40:41], v[68:69], v[48:49], v[22:23] op_sel:[0,0,1] op_sel_hi:[1,1,0]
	v_pk_fma_f32 v[34:35], v[68:69], v[48:49], v[22:23] op_sel:[0,0,1] op_sel_hi:[0,1,0] neg_lo:[0,0,1] neg_hi:[0,0,1]
	v_pk_mul_f32 v[22:23], v[52:53], v[46:47] op_sel:[1,0]
	v_mov_b32_e32 v65, v59
	v_pk_fma_f32 v[68:69], v[52:53], v[46:47], v[22:23] op_sel:[0,0,1] op_sel_hi:[1,1,0]
	v_pk_fma_f32 v[52:53], v[52:53], v[46:47], v[22:23] op_sel:[0,0,1] op_sel_hi:[0,1,0] neg_lo:[0,0,1] neg_hi:[0,0,1]
	v_pk_mul_f32 v[22:23], v[198:199], v[24:25] op_sel_hi:[0,1]
	v_pk_fma_f32 v[94:95], v[54:55], v[24:25], v[22:23] op_sel:[0,0,1] op_sel_hi:[1,1,0]
	v_pk_fma_f32 v[96:97], v[54:55], v[24:25], v[22:23] op_sel:[0,0,1] op_sel_hi:[0,1,0] neg_lo:[0,0,1] neg_hi:[0,0,1]
	s_waitcnt lgkmcnt(0)
	v_pk_mul_f32 v[24:25], v[208:209], v[28:29] op_sel_hi:[0,1]
	v_pk_fma_f32 v[22:23], v[74:75], v[28:29], v[24:25] op_sel:[0,0,1] op_sel_hi:[1,1,0]
	v_pk_fma_f32 v[48:49], v[74:75], v[28:29], v[24:25] op_sel:[0,0,1] op_sel_hi:[0,1,0] neg_lo:[0,0,1] neg_hi:[0,0,1]
	v_pk_mul_f32 v[24:25], v[72:73], v[86:87] op_sel:[1,0]
	v_pk_mul_f32 v[28:29], v[60:61], v[84:85] op_sel:[1,0]
	v_pk_fma_f32 v[46:47], v[72:73], v[86:87], v[24:25] op_sel:[0,0,1] op_sel_hi:[1,1,0]
	v_pk_fma_f32 v[24:25], v[72:73], v[86:87], v[24:25] op_sel:[0,0,1] op_sel_hi:[0,1,0] neg_lo:[0,0,1] neg_hi:[0,0,1]
	ds_read2_b64 v[86:89], v195 offset0:16 offset1:216
	v_pk_fma_f32 v[72:73], v[60:61], v[84:85], v[28:29] op_sel:[0,0,1] op_sel_hi:[1,1,0]
	v_pk_fma_f32 v[84:85], v[60:61], v[84:85], v[28:29] op_sel:[0,0,1] op_sel_hi:[0,1,0] neg_lo:[0,0,1] neg_hi:[0,0,1]
	v_pk_mul_f32 v[28:29], v[192:193], v[26:27] op_sel_hi:[0,1]
	v_pk_fma_f32 v[98:99], v[62:63], v[26:27], v[28:29] op_sel:[0,0,1] op_sel_hi:[1,1,0]
	v_pk_fma_f32 v[60:61], v[62:63], v[26:27], v[28:29] op_sel:[0,0,1] op_sel_hi:[0,1,0] neg_lo:[0,0,1] neg_hi:[0,0,1]
	s_waitcnt lgkmcnt(0)
	v_pk_mul_f32 v[26:27], v[178:179], v[88:89] op_sel:[1,0]
	v_mov_b32_e32 v99, v61
	v_pk_fma_f32 v[28:29], v[178:179], v[88:89], v[26:27] op_sel:[0,0,1] op_sel_hi:[1,1,0]
	v_pk_fma_f32 v[26:27], v[178:179], v[88:89], v[26:27] op_sel:[0,0,1] op_sel_hi:[0,1,0] neg_lo:[0,0,1] neg_hi:[0,0,1]
	v_pk_mul_f32 v[88:89], v[176:177], v[86:87] op_sel:[1,0]
	v_mov_b32_e32 v91, v93
	v_pk_fma_f32 v[100:101], v[176:177], v[86:87], v[88:89] op_sel:[0,0,1] op_sel_hi:[1,1,0]
	v_pk_fma_f32 v[86:87], v[176:177], v[86:87], v[88:89] op_sel:[0,0,1] op_sel_hi:[0,1,0] neg_lo:[0,0,1] neg_hi:[0,0,1]
	v_mov_b32_e32 v5, v100
	v_mov_b32_e32 v88, v68
	;; [unrolled: 1-line block ×3, first 2 shown]
	v_pk_add_f32 v[60:61], v[4:5], v[88:89] neg_lo:[0,1] neg_hi:[0,1]
	v_mov_b32_e32 v69, v53
	v_mov_b32_e32 v2, v61
	v_pk_add_f32 v[92:93], v[60:61], v[2:3]
	v_pk_add_f32 v[60:61], v[6:7], v[64:65]
	v_mov_b32_e32 v73, v85
	v_pk_add_f32 v[60:61], v[60:61], v[68:69]
	v_mov_b32_e32 v95, v97
	v_pk_add_f32 v[96:97], v[68:69], v[72:73]
	v_pk_add_f32 v[68:69], v[68:69], v[72:73] neg_lo:[0,1] neg_hi:[0,1]
	v_pk_add_f32 v[72:73], v[60:61], v[72:73]
	v_mov_b32_e32 v86, v59
	v_mov_b32_e32 v84, v53
	ds_read2_b64 v[58:61], v130 offset1:200
	v_pk_add_f32 v[52:53], v[86:87], v[84:85] neg_lo:[0,1] neg_hi:[0,1]
	v_mov_b32_e32 v101, v87
	v_mov_b32_e32 v2, v53
	v_pk_add_f32 v[52:53], v[52:53], v[2:3]
	v_pk_add_f32 v[102:103], v[56:57], v[90:91] neg_lo:[0,1] neg_hi:[0,1]
	v_pk_add_f32 v[104:105], v[98:99], v[94:95] neg_lo:[0,1] neg_hi:[0,1]
	v_fma_f32 v1, -0.5, v96, v6
	v_fma_f32 v9, -0.5, v97, v45
	v_mov_b32_e32 v93, v69
	v_pk_add_f32 v[96:97], v[64:65], v[100:101] neg_lo:[0,1] neg_hi:[0,1]
	v_pk_add_f32 v[102:103], v[102:103], v[104:105]
	v_pk_add_f32 v[104:105], v[90:91], v[94:95]
	v_pk_add_f32 v[106:107], v[56:57], v[98:99] neg_lo:[0,1] neg_hi:[0,1]
	v_pk_mul_f32 v[92:93], v[92:93], s[2:3]
	v_fmamk_f32 v2, v97, 0xbf737871, v1
	v_mov_b32_e32 v53, v68
	s_waitcnt lgkmcnt(0)
	v_pk_fma_f32 v[104:105], v[104:105], 0.5, v[58:59] op_sel_hi:[1,0,1] neg_lo:[1,0,0] neg_hi:[1,0,0]
	v_pk_mul_f32 v[108:109], v[106:107], s[6:7] op_sel_hi:[1,0]
	v_sub_f32_e32 v7, v2, v93
	v_pk_mul_f32 v[52:53], v[52:53], s[2:3]
	v_fmamk_f32 v2, v96, 0x3f737871, v9
	v_pk_add_f32 v[110:111], v[104:105], v[108:109] op_sel:[0,1] op_sel_hi:[1,0] neg_lo:[0,1] neg_hi:[0,1]
	v_pk_add_f32 v[104:105], v[104:105], v[108:109] op_sel:[0,1] op_sel_hi:[1,0]
	v_pk_add_f32 v[108:109], v[90:91], v[94:95] neg_lo:[0,1] neg_hi:[0,1]
	v_add_f32_e32 v2, v53, v2
	v_pk_mul_f32 v[112:113], v[108:109], s[8:9] op_sel_hi:[1,0]
	v_add_f32_e32 v2, v52, v2
	v_pk_add_f32 v[104:105], v[104:105], v[112:113] op_sel:[0,1] op_sel_hi:[1,0]
	v_pk_add_f32 v[110:111], v[110:111], v[112:113] op_sel:[0,1] op_sel_hi:[1,0] neg_lo:[0,1] neg_hi:[0,1]
	v_pk_mul_f32 v[112:113], v[2:3], s[8:9] op_sel_hi:[0,1]
	v_add_f32_e32 v2, v92, v7
	v_pk_add_f32 v[4:5], v[88:89], v[4:5] neg_lo:[0,1] neg_hi:[0,1]
	v_pk_fma_f32 v[114:115], v[2:3], s[12:13], v[112:113] neg_lo:[0,0,1] neg_hi:[0,0,1]
	v_pk_fma_f32 v[112:113], v[2:3], s[12:13], v[112:113] op_sel_hi:[0,1,1]
	v_mov_b32_e32 v2, v5
	v_mov_b32_e32 v11, v6
	v_pk_add_f32 v[6:7], v[84:85], v[86:87] neg_lo:[0,1] neg_hi:[0,1]
	v_pk_add_f32 v[4:5], v[4:5], v[2:3]
	v_mov_b32_e32 v2, v7
	v_pk_add_f32 v[64:65], v[64:65], v[100:101]
	v_pk_add_f32 v[6:7], v[6:7], v[2:3]
	v_mov_b32_e32 v115, v113
	v_pk_add_f32 v[112:113], v[58:59], v[56:57]
	v_fmac_f32_e32 v11, -0.5, v64
	v_fmac_f32_e32 v45, -0.5, v65
	v_mov_b32_e32 v5, v97
	v_mov_b32_e32 v7, v96
	v_pk_add_f32 v[112:113], v[112:113], v[90:91]
	v_fmamk_f32 v2, v69, 0x3f737871, v11
	v_fmamk_f32 v17, v68, 0xbf737871, v45
	v_pk_mul_f32 v[4:5], v[4:5], s[2:3]
	v_pk_mul_f32 v[6:7], v[6:7], s[2:3]
	v_pk_add_f32 v[112:113], v[112:113], v[94:95]
	v_mov_b32_e32 v116, v110
	v_mov_b32_e32 v117, v105
	v_sub_f32_e32 v18, v2, v5
	v_add_f32_e32 v2, v7, v17
	v_pk_add_f32 v[112:113], v[112:113], v[98:99]
	v_pk_add_f32 v[72:73], v[72:73], v[100:101]
	v_pk_fma_f32 v[116:117], v[102:103], s[2:3], v[116:117] op_sel_hi:[1,0,1]
	v_fmac_f32_e32 v11, 0xbf737871, v69
	v_fmac_f32_e32 v45, 0x3f737871, v68
	v_pk_add_f32 v[64:65], v[90:91], v[56:57] neg_lo:[0,1] neg_hi:[0,1]
	v_pk_add_f32 v[68:69], v[94:95], v[98:99] neg_lo:[0,1] neg_hi:[0,1]
	v_add_f32_e32 v2, v6, v2
	v_pk_add_f32 v[118:119], v[112:113], v[72:73]
	v_pk_add_f32 v[120:121], v[116:117], v[114:115]
	;; [unrolled: 1-line block ×3, first 2 shown]
	v_pk_mul_f32 v[68:69], v[2:3], s[6:7] op_sel_hi:[0,1]
	v_add_f32_e32 v2, v4, v18
	s_barrier
	ds_write2_b64 v75, v[118:119], v[120:121] offset1:100
	v_pk_add_f32 v[56:57], v[56:57], v[98:99]
	v_pk_fma_f32 v[74:75], v[2:3], s[10:11], v[68:69] neg_lo:[0,0,1] neg_hi:[0,0,1]
	v_pk_fma_f32 v[68:69], v[2:3], s[10:11], v[68:69] op_sel_hi:[0,1,1]
	v_add_f32_e32 v2, v5, v11
	v_pk_fma_f32 v[56:57], v[56:57], 0.5, v[58:59] op_sel_hi:[1,0,1] neg_lo:[1,0,0] neg_hi:[1,0,0]
	v_pk_mul_f32 v[58:59], v[108:109], s[6:7] op_sel_hi:[1,0]
	v_add_f32_e32 v2, v4, v2
	v_sub_f32_e32 v4, v45, v7
	v_mov_b32_e32 v75, v69
	v_pk_add_f32 v[68:69], v[56:57], v[58:59] op_sel:[0,1] op_sel_hi:[1,0]
	v_pk_add_f32 v[56:57], v[56:57], v[58:59] op_sel:[0,1] op_sel_hi:[1,0] neg_lo:[0,1] neg_hi:[0,1]
	v_pk_mul_f32 v[58:59], v[106:107], s[8:9] op_sel_hi:[1,0]
	v_add_f32_e32 v4, v6, v4
	v_fmac_f32_e32 v1, 0x3f737871, v97
	v_pk_add_f32 v[56:57], v[56:57], v[58:59] op_sel:[0,1] op_sel_hi:[1,0]
	v_pk_add_f32 v[58:59], v[68:69], v[58:59] op_sel:[0,1] op_sel_hi:[1,0] neg_lo:[0,1] neg_hi:[0,1]
	v_pk_mul_f32 v[4:5], v[4:5], s[6:7] op_sel_hi:[0,1]
	v_fmac_f32_e32 v9, 0xbf737871, v96
	v_add_f32_e32 v1, v93, v1
	v_pk_fma_f32 v[4:5], v[2:3], s[14:15], v[4:5] op_sel_hi:[0,1,1] neg_lo:[0,0,1] neg_hi:[0,0,1]
	v_mov_b32_e32 v6, v58
	v_mov_b32_e32 v7, v57
	;; [unrolled: 1-line block ×3, first 2 shown]
	v_add_f32_e32 v2, v92, v1
	v_sub_f32_e32 v1, v9, v53
	v_pk_fma_f32 v[6:7], v[64:65], s[2:3], v[6:7] op_sel_hi:[1,0,1]
	v_pk_fma_f32 v[44:45], v[64:65], s[2:3], v[56:57] op_sel_hi:[1,0,1]
	v_add_f32_e32 v18, v52, v1
	v_pk_add_f32 v[56:57], v[6:7], v[74:75]
	v_pk_add_f32 v[58:59], v[44:45], v[4:5]
	v_pk_mul_f32 v[52:53], v[18:19], s[8:9] op_sel_hi:[0,1]
	v_mov_b32_e32 v105, v111
	ds_write2_b64 v213, v[56:57], v[58:59] offset0:72 offset1:172
	v_pk_fma_f32 v[52:53], v[2:3], s[16:17], v[52:53] op_sel_hi:[0,1,1] neg_lo:[0,0,1] neg_hi:[0,0,1]
	v_pk_fma_f32 v[56:57], v[102:103], s[2:3], v[104:105] op_sel_hi:[1,0,1]
	v_pk_add_f32 v[58:59], v[112:113], v[72:73] neg_lo:[0,1] neg_hi:[0,1]
	v_pk_add_f32 v[64:65], v[56:57], v[52:53]
	ds_write2_b64 v131, v[64:65], v[58:59] offset0:144 offset1:244
	v_pk_add_f32 v[58:59], v[116:117], v[114:115] neg_lo:[0,1] neg_hi:[0,1]
	v_pk_add_f32 v[6:7], v[6:7], v[74:75] neg_lo:[0,1] neg_hi:[0,1]
	ds_write2_b64 v211, v[58:59], v[6:7] offset0:88 offset1:188
	v_pk_add_f32 v[4:5], v[44:45], v[4:5] neg_lo:[0,1] neg_hi:[0,1]
	v_pk_add_f32 v[6:7], v[56:57], v[52:53] neg_lo:[0,1] neg_hi:[0,1]
	v_mov_b32_e32 v1, v19
	v_mov_b32_e32 v9, v33
	;; [unrolled: 1-line block ×4, first 2 shown]
	ds_write2_b64 v215, v[4:5], v[6:7] offset0:32 offset1:132
	v_pk_add_f32 v[4:5], v[0:1], v[8:9] neg_lo:[0,1] neg_hi:[0,1]
	v_pk_add_f32 v[6:7], v[22:23], v[10:11] neg_lo:[0,1] neg_hi:[0,1]
	v_mov_b32_e32 v18, v40
	v_pk_add_f32 v[4:5], v[4:5], v[6:7]
	v_mov_b32_e32 v6, v20
	v_mov_b32_e32 v7, v28
	;; [unrolled: 1-line block ×3, first 2 shown]
	v_pk_add_f32 v[32:33], v[6:7], v[18:19] neg_lo:[0,1] neg_hi:[0,1]
	v_mov_b32_e32 v26, v31
	v_mov_b32_e32 v24, v35
	;; [unrolled: 1-line block ×5, first 2 shown]
	v_pk_add_f32 v[30:31], v[26:27], v[24:25] neg_lo:[0,1] neg_hi:[0,1]
	v_pk_add_f32 v[32:33], v[32:33], v[2:3]
	v_mov_b32_e32 v41, v35
	v_mov_b32_e32 v47, v25
	v_pk_add_f32 v[42:43], v[16:17], v[20:21]
	v_mov_b32_e32 v2, v31
	v_pk_add_f32 v[42:43], v[42:43], v[40:41]
	v_pk_add_f32 v[44:45], v[40:41], v[46:47]
	v_pk_add_f32 v[40:41], v[40:41], v[46:47] neg_lo:[0,1] neg_hi:[0,1]
	v_pk_add_f32 v[30:31], v[30:31], v[2:3]
	v_mov_b32_e32 v29, v27
	v_fma_f32 v2, -0.5, v44, v16
	v_fma_f32 v17, -0.5, v45, v3
	v_mov_b32_e32 v33, v41
	v_pk_add_f32 v[34:35], v[20:21], v[28:29] neg_lo:[0,1] neg_hi:[0,1]
	v_mov_b32_e32 v31, v40
	v_pk_mul_f32 v[32:33], v[32:33], s[2:3]
	v_fmamk_f32 v39, v35, 0xbf737871, v2
	v_fmac_f32_e32 v2, 0x3f737871, v35
	v_pk_mul_f32 v[30:31], v[30:31], s[2:3]
	v_fmamk_f32 v50, v34, 0x3f737871, v17
	v_fmac_f32_e32 v17, 0xbf737871, v34
	v_pk_add_f32 v[42:43], v[42:43], v[46:47]
	v_add_f32_e32 v46, v33, v2
	v_sub_f32_e32 v2, v17, v31
	v_add_f32_e32 v2, v30, v2
	v_pk_mul_f32 v[44:45], v[2:3], s[8:9] op_sel_hi:[0,1]
	v_add_f32_e32 v2, v32, v46
	v_add_f32_e32 v17, v31, v50
	v_pk_fma_f32 v[44:45], v[2:3], s[16:17], v[44:45] op_sel_hi:[0,1,1] neg_lo:[0,0,1] neg_hi:[0,0,1]
	v_sub_f32_e32 v2, v39, v33
	v_add_f32_e32 v30, v30, v17
	v_add_f32_e32 v2, v32, v2
	v_pk_mul_f32 v[30:31], v[30:31], s[8:9] op_sel_hi:[0,1]
	v_pk_add_f32 v[6:7], v[18:19], v[6:7] neg_lo:[0,1] neg_hi:[0,1]
	v_pk_add_f32 v[46:47], v[8:9], v[10:11]
	v_pk_fma_f32 v[32:33], v[2:3], s[12:13], v[30:31] neg_lo:[0,0,1] neg_hi:[0,0,1]
	v_pk_fma_f32 v[30:31], v[2:3], s[12:13], v[30:31] op_sel_hi:[0,1,1]
	v_pk_add_f32 v[20:21], v[20:21], v[28:29]
	v_mov_b32_e32 v2, v7
	v_mov_b32_e32 v18, v16
	v_pk_add_f32 v[16:17], v[24:25], v[26:27] neg_lo:[0,1] neg_hi:[0,1]
	v_pk_fma_f32 v[46:47], v[46:47], 0.5, v[60:61] op_sel_hi:[1,0,1] neg_lo:[1,0,0] neg_hi:[1,0,0]
	v_pk_add_f32 v[48:49], v[0:1], v[22:23] neg_lo:[0,1] neg_hi:[0,1]
	v_pk_add_f32 v[6:7], v[6:7], v[2:3]
	v_fmac_f32_e32 v3, -0.5, v21
	v_mov_b32_e32 v2, v17
	v_pk_fma_f32 v[52:53], v[48:49], s[6:7], v[46:47] op_sel:[1,0,0] op_sel_hi:[0,0,1]
	v_pk_fma_f32 v[46:47], v[48:49], s[6:7], v[46:47] op_sel:[1,0,0] op_sel_hi:[0,0,1] neg_lo:[1,0,0] neg_hi:[1,0,0]
	v_pk_add_f32 v[56:57], v[8:9], v[10:11] neg_lo:[0,1] neg_hi:[0,1]
	v_pk_add_f32 v[64:65], v[60:61], v[0:1]
	v_pk_add_f32 v[16:17], v[16:17], v[2:3]
	v_pk_fma_f32 v[46:47], v[56:57], s[8:9], v[46:47] op_sel:[1,0,0] op_sel_hi:[0,0,1] neg_lo:[1,0,0] neg_hi:[1,0,0]
	v_pk_fma_f32 v[52:53], v[56:57], s[8:9], v[52:53] op_sel:[1,0,0] op_sel_hi:[0,0,1]
	v_pk_add_f32 v[64:65], v[64:65], v[8:9]
	v_mov_b32_e32 v17, v34
	v_mov_b32_e32 v58, v52
	;; [unrolled: 1-line block ×3, first 2 shown]
	v_pk_add_f32 v[64:65], v[64:65], v[10:11]
	v_mov_b32_e32 v47, v53
	v_fmac_f32_e32 v18, -0.5, v20
	v_mov_b32_e32 v7, v35
	v_fmamk_f32 v20, v40, 0xbf737871, v3
	v_fmac_f32_e32 v3, 0x3f737871, v40
	v_pk_mul_f32 v[16:17], v[16:17], s[2:3]
	v_pk_fma_f32 v[58:59], v[4:5], s[2:3], v[58:59] op_sel_hi:[1,0,1]
	v_pk_add_f32 v[42:43], v[42:43], v[28:29]
	v_pk_add_f32 v[64:65], v[64:65], v[22:23]
	v_mov_b32_e32 v33, v31
	v_pk_fma_f32 v[4:5], v[4:5], s[2:3], v[46:47] op_sel_hi:[1,0,1]
	v_fmamk_f32 v19, v41, 0x3f737871, v18
	v_fmac_f32_e32 v18, 0xbf737871, v41
	v_sub_f32_e32 v21, v3, v17
	v_pk_mul_f32 v[2:3], v[6:7], s[2:3]
	v_pk_add_f32 v[68:69], v[64:65], v[42:43] neg_lo:[0,1] neg_hi:[0,1]
	v_pk_add_f32 v[42:43], v[64:65], v[42:43]
	v_pk_add_f32 v[30:31], v[4:5], v[32:33]
	v_add_f32_e32 v18, v3, v18
	v_sub_f32_e32 v3, v19, v3
	ds_write2_b64 v51, v[42:43], v[30:31] offset1:100
	v_pk_add_f32 v[30:31], v[0:1], v[22:23]
	v_add_f32_e32 v18, v2, v18
	v_add_f32_e32 v2, v2, v3
	v_add_f32_e32 v3, v17, v20
	v_pk_fma_f32 v[30:31], v[30:31], 0.5, v[60:61] op_sel_hi:[1,0,1] neg_lo:[1,0,0] neg_hi:[1,0,0]
	v_add_f32_e32 v6, v16, v21
	v_pk_add_f32 v[0:1], v[8:9], v[0:1] neg_lo:[0,1] neg_hi:[0,1]
	v_pk_add_f32 v[8:9], v[10:11], v[22:23] neg_lo:[0,1] neg_hi:[0,1]
	v_add_f32_e32 v16, v16, v3
	v_pk_mul_f32 v[6:7], v[6:7], s[6:7] op_sel_hi:[0,1]
	v_pk_add_f32 v[0:1], v[0:1], v[8:9]
	v_pk_fma_f32 v[8:9], v[56:57], s[6:7], v[30:31] op_sel:[1,0,0] op_sel_hi:[0,0,1] neg_lo:[1,0,0] neg_hi:[1,0,0]
	v_pk_fma_f32 v[10:11], v[56:57], s[6:7], v[30:31] op_sel:[1,0,0] op_sel_hi:[0,0,1]
	v_pk_mul_f32 v[16:17], v[16:17], s[6:7] op_sel_hi:[0,1]
	v_pk_fma_f32 v[6:7], v[18:19], s[14:15], v[6:7] op_sel_hi:[0,1,1] neg_lo:[0,0,1] neg_hi:[0,0,1]
	v_pk_fma_f32 v[10:11], v[48:49], s[8:9], v[10:11] op_sel:[1,0,0] op_sel_hi:[0,0,1] neg_lo:[1,0,0] neg_hi:[1,0,0]
	v_pk_fma_f32 v[8:9], v[48:49], s[8:9], v[8:9] op_sel:[1,0,0] op_sel_hi:[0,0,1]
	v_pk_fma_f32 v[18:19], v[2:3], s[10:11], v[16:17] neg_lo:[0,0,1] neg_hi:[0,0,1]
	v_pk_fma_f32 v[2:3], v[2:3], s[10:11], v[16:17] op_sel_hi:[0,1,1]
	v_mov_b32_e32 v19, v3
	v_mov_b32_e32 v2, v8
	;; [unrolled: 1-line block ×4, first 2 shown]
	v_pk_fma_f32 v[2:3], v[0:1], s[2:3], v[2:3] op_sel_hi:[1,0,1]
	v_pk_fma_f32 v[0:1], v[0:1], s[2:3], v[10:11] op_sel_hi:[1,0,1]
	v_pk_add_f32 v[4:5], v[4:5], v[32:33] neg_lo:[0,1] neg_hi:[0,1]
	v_pk_add_f32 v[10:11], v[0:1], v[18:19]
	v_pk_add_f32 v[0:1], v[0:1], v[18:19] neg_lo:[0,1] neg_hi:[0,1]
	v_pk_add_f32 v[72:73], v[58:59], v[44:45]
	v_pk_add_f32 v[8:9], v[2:3], v[6:7]
	ds_write2_b64 v63, v[4:5], v[0:1] offset0:88 offset1:188
	v_pk_add_f32 v[0:1], v[58:59], v[44:45] neg_lo:[0,1] neg_hi:[0,1]
	v_pk_add_f32 v[2:3], v[2:3], v[6:7] neg_lo:[0,1] neg_hi:[0,1]
	ds_write2_b64 v71, v[72:73], v[68:69] offset0:144 offset1:244
	ds_write2_b64 v55, v[10:11], v[8:9] offset0:72 offset1:172
	;; [unrolled: 1-line block ×3, first 2 shown]
	s_waitcnt lgkmcnt(0)
	s_barrier
	ds_read2_b64 v[0:3], v219 offset1:200
	ds_read2_b64 v[8:11], v195 offset0:16 offset1:216
	s_waitcnt lgkmcnt(1)
	v_pk_mul_f32 v[4:5], v[184:185], v[0:1] op_sel:[1,0]
	s_nop 0
	v_pk_fma_f32 v[6:7], v[184:185], v[0:1], v[4:5] op_sel:[0,0,1] op_sel_hi:[1,1,0]
	v_pk_fma_f32 v[4:5], v[184:185], v[0:1], v[4:5] op_sel:[0,0,1] op_sel_hi:[0,1,0] neg_lo:[0,0,1] neg_hi:[0,0,1]
	v_pk_mul_f32 v[0:1], v[182:183], v[2:3] op_sel:[1,0]
	s_waitcnt lgkmcnt(0)
	v_pk_mul_f32 v[20:21], v[222:223], v[8:9] op_sel:[1,0]
	v_pk_fma_f32 v[16:17], v[182:183], v[2:3], v[0:1] op_sel:[0,0,1] op_sel_hi:[1,1,0]
	v_pk_fma_f32 v[18:19], v[182:183], v[2:3], v[0:1] op_sel:[0,0,1] op_sel_hi:[0,1,0] neg_lo:[0,0,1] neg_hi:[0,0,1]
	ds_read2_b64 v[0:3], v199 offset0:48 offset1:248
	v_pk_fma_f32 v[22:23], v[222:223], v[8:9], v[20:21] op_sel:[0,0,1] op_sel_hi:[1,1,0]
	v_pk_fma_f32 v[20:21], v[222:223], v[8:9], v[20:21] op_sel:[0,0,1] op_sel_hi:[0,1,0] neg_lo:[0,0,1] neg_hi:[0,0,1]
	v_pk_mul_f32 v[8:9], v[226:227], v[10:11] op_sel:[1,0]
	v_accvgpr_read_b32 v4, a4
	v_pk_fma_f32 v[24:25], v[226:227], v[10:11], v[8:9] op_sel:[0,0,1] op_sel_hi:[1,1,0]
	v_pk_fma_f32 v[26:27], v[226:227], v[10:11], v[8:9] op_sel:[0,0,1] op_sel_hi:[0,1,0] neg_lo:[0,0,1] neg_hi:[0,0,1]
	ds_read2_b64 v[8:11], v191 offset1:200
	s_waitcnt lgkmcnt(1)
	v_pk_mul_f32 v[28:29], v[200:201], v[2:3] op_sel:[1,0]
	v_mov_b32_e32 v7, v5
	v_pk_fma_f32 v[30:31], v[200:201], v[2:3], v[28:29] op_sel:[0,0,1] op_sel_hi:[1,1,0]
	v_pk_fma_f32 v[28:29], v[200:201], v[2:3], v[28:29] op_sel:[0,0,1] op_sel_hi:[0,1,0] neg_lo:[0,0,1] neg_hi:[0,0,1]
	v_pk_mul_f32 v[2:3], v[224:225], v[0:1] op_sel_hi:[0,1]
	v_pk_fma_f32 v[32:33], v[82:83], v[0:1], v[2:3] op_sel:[0,0,1] op_sel_hi:[1,1,0]
	v_pk_fma_f32 v[34:35], v[82:83], v[0:1], v[2:3] op_sel:[0,0,1] op_sel_hi:[0,1,0] neg_lo:[0,0,1] neg_hi:[0,0,1]
	ds_read2_b64 v[0:3], v229 offset0:32 offset1:232
	s_waitcnt lgkmcnt(1)
	v_pk_mul_f32 v[40:41], v[80:81], v[10:11] op_sel:[1,0]
	v_mov_b32_e32 v31, v29
	v_pk_fma_f32 v[42:43], v[80:81], v[10:11], v[40:41] op_sel:[0,0,1] op_sel_hi:[1,1,0]
	v_pk_fma_f32 v[40:41], v[80:81], v[10:11], v[40:41] op_sel:[0,0,1] op_sel_hi:[0,1,0] neg_lo:[0,0,1] neg_hi:[0,0,1]
	v_pk_mul_f32 v[10:11], v[76:77], v[8:9] op_sel:[1,0]
	s_waitcnt lgkmcnt(0)
	v_pk_mul_f32 v[48:49], v[220:221], v[2:3] op_sel_hi:[0,1]
	v_pk_fma_f32 v[44:45], v[76:77], v[8:9], v[10:11] op_sel:[0,0,1] op_sel_hi:[1,1,0]
	v_pk_fma_f32 v[46:47], v[76:77], v[8:9], v[10:11] op_sel:[0,0,1] op_sel_hi:[0,1,0] neg_lo:[0,0,1] neg_hi:[0,0,1]
	ds_read2_b64 v[8:11], v203 offset0:48 offset1:248
	v_pk_fma_f32 v[50:51], v[78:79], v[2:3], v[48:49] op_sel:[0,0,1] op_sel_hi:[1,1,0]
	v_pk_fma_f32 v[48:49], v[78:79], v[2:3], v[48:49] op_sel:[0,0,1] op_sel_hi:[0,1,0] neg_lo:[0,0,1] neg_hi:[0,0,1]
	v_pk_mul_f32 v[2:3], v[202:203], v[0:1] op_sel_hi:[0,1]
	v_pk_fma_f32 v[52:53], v[38:39], v[0:1], v[2:3] op_sel:[0,0,1] op_sel_hi:[1,1,0]
	v_pk_fma_f32 v[38:39], v[38:39], v[0:1], v[2:3] op_sel:[0,0,1] op_sel_hi:[0,1,0] neg_lo:[0,0,1] neg_hi:[0,0,1]
	ds_read2_b64 v[0:3], v197 offset0:16 offset1:216
	s_waitcnt lgkmcnt(1)
	v_pk_mul_f32 v[54:55], v[36:37], v[10:11] op_sel:[1,0]
	v_mov_b32_e32 v33, v35
	v_pk_fma_f32 v[56:57], v[36:37], v[10:11], v[54:55] op_sel:[0,0,1] op_sel_hi:[1,1,0]
	v_pk_fma_f32 v[36:37], v[36:37], v[10:11], v[54:55] op_sel:[0,0,1] op_sel_hi:[0,1,0] neg_lo:[0,0,1] neg_hi:[0,0,1]
	v_pk_mul_f32 v[10:11], v[12:13], v[8:9] op_sel:[1,0]
	s_waitcnt lgkmcnt(0)
	v_pk_mul_f32 v[58:59], v[4:5], v[2:3] op_sel_hi:[0,1]
	v_pk_fma_f32 v[54:55], v[12:13], v[8:9], v[10:11] op_sel:[0,0,1] op_sel_hi:[1,1,0]
	v_pk_fma_f32 v[12:13], v[12:13], v[8:9], v[10:11] op_sel:[0,0,1] op_sel_hi:[0,1,0] neg_lo:[0,0,1] neg_hi:[0,0,1]
	ds_read2_b64 v[8:11], v193 offset0:32 offset1:232
	v_pk_fma_f32 v[60:61], v[14:15], v[2:3], v[58:59] op_sel:[0,0,1] op_sel_hi:[1,1,0]
	v_pk_fma_f32 v[58:59], v[14:15], v[2:3], v[58:59] op_sel:[0,0,1] op_sel_hi:[0,1,0] neg_lo:[0,0,1] neg_hi:[0,0,1]
	v_mov_b32_e32 v2, v127
	v_pk_mul_f32 v[2:3], v[2:3], v[0:1] op_sel_hi:[0,1]
	v_pk_fma_f32 v[62:63], v[126:127], v[0:1], v[2:3] op_sel:[0,0,1] op_sel_hi:[1,1,0]
	v_pk_fma_f32 v[0:1], v[126:127], v[0:1], v[2:3] op_sel:[0,0,1] op_sel_hi:[0,1,0] neg_lo:[0,0,1] neg_hi:[0,0,1]
	s_waitcnt lgkmcnt(0)
	v_pk_mul_f32 v[2:3], v[124:125], v[10:11] op_sel:[1,0]
	v_mov_b32_e32 v63, v1
	v_pk_fma_f32 v[64:65], v[124:125], v[10:11], v[2:3] op_sel:[0,0,1] op_sel_hi:[1,1,0]
	v_pk_fma_f32 v[2:3], v[124:125], v[10:11], v[2:3] op_sel:[0,0,1] op_sel_hi:[0,1,0] neg_lo:[0,0,1] neg_hi:[0,0,1]
	v_mov_b32_e32 v65, v3
	ds_read2_b64 v[0:3], v130 offset1:200
	v_mov_b32_e32 v55, v13
	v_mov_b32_e32 v61, v59
	;; [unrolled: 1-line block ×4, first 2 shown]
	s_waitcnt lgkmcnt(0)
	v_pk_add_f32 v[4:5], v[0:1], v[62:63] neg_lo:[0,1] neg_hi:[0,1]
	v_pk_add_f32 v[10:11], v[2:3], v[60:61] neg_lo:[0,1] neg_hi:[0,1]
	v_pk_fma_f32 v[12:13], v[0:1], 2.0, v[4:5] op_sel_hi:[1,0,1] neg_lo:[0,0,1] neg_hi:[0,0,1]
	v_pk_add_f32 v[0:1], v[64:65], v[30:31] neg_lo:[0,1] neg_hi:[0,1]
	v_pk_fma_f32 v[28:29], v[2:3], 2.0, v[10:11] op_sel_hi:[1,0,1] neg_lo:[0,0,1] neg_hi:[0,0,1]
	v_pk_fma_f32 v[30:31], v[64:65], 2.0, v[0:1] op_sel_hi:[1,0,1] neg_lo:[0,0,1] neg_hi:[0,0,1]
	v_pk_add_f32 v[58:59], v[4:5], v[0:1] op_sel:[0,1] op_sel_hi:[1,0]
	v_pk_add_f32 v[0:1], v[4:5], v[0:1] op_sel:[0,1] op_sel_hi:[1,0] neg_lo:[0,1] neg_hi:[0,1]
	v_mov_b32_e32 v17, v19
	v_mov_b32_e32 v59, v1
	v_pk_fma_f32 v[4:5], v[4:5], 2.0, v[58:59] op_sel_hi:[1,0,1] neg_lo:[0,0,1] neg_hi:[0,0,1]
	ds_read2_b64 v[0:3], v205 offset0:16 offset1:216
	ds_write_b64 v130, v[4:5] offset:8000
	v_pk_add_f32 v[4:5], v[12:13], v[30:31] neg_lo:[0,1] neg_hi:[0,1]
	ds_write_b64 v130, v[4:5] offset:16000
	ds_write_b64 v130, v[58:59] offset:24000
	v_pk_fma_f32 v[12:13], v[12:13], 2.0, v[4:5] op_sel_hi:[1,0,1] neg_lo:[0,0,1] neg_hi:[0,0,1]
	v_pk_add_f32 v[4:5], v[54:55], v[6:7] neg_lo:[0,1] neg_hi:[0,1]
	v_mov_b32_e32 v45, v47
	v_pk_fma_f32 v[6:7], v[54:55], 2.0, v[4:5] op_sel_hi:[1,0,1] neg_lo:[0,0,1] neg_hi:[0,0,1]
	v_mov_b32_e32 v51, v49
	v_pk_add_f32 v[6:7], v[28:29], v[6:7] neg_lo:[0,1] neg_hi:[0,1]
	v_mov_b32_e32 v23, v21
	v_pk_fma_f32 v[28:29], v[28:29], 2.0, v[6:7] op_sel_hi:[1,0,1] neg_lo:[0,0,1] neg_hi:[0,0,1]
	ds_write2_b64 v130, v[12:13], v[28:29] offset1:200
	v_pk_add_f32 v[28:29], v[8:9], v[32:33] neg_lo:[0,1] neg_hi:[0,1]
	v_pk_add_f32 v[32:33], v[10:11], v[4:5] op_sel:[0,1] op_sel_hi:[1,0]
	v_pk_add_f32 v[4:5], v[10:11], v[4:5] op_sel:[0,1] op_sel_hi:[1,0] neg_lo:[0,1] neg_hi:[0,1]
	s_waitcnt lgkmcnt(4)
	v_pk_add_f32 v[12:13], v[0:1], v[52:53] neg_lo:[0,1] neg_hi:[0,1]
	v_pk_add_f32 v[18:19], v[2:3], v[50:51] neg_lo:[0,1] neg_hi:[0,1]
	;; [unrolled: 1-line block ×4, first 2 shown]
	v_mov_b32_e32 v33, v5
	v_pk_fma_f32 v[0:1], v[0:1], 2.0, v[12:13] op_sel_hi:[1,0,1] neg_lo:[0,0,1] neg_hi:[0,0,1]
	v_pk_fma_f32 v[2:3], v[2:3], 2.0, v[18:19] op_sel_hi:[1,0,1] neg_lo:[0,0,1] neg_hi:[0,0,1]
	v_mov_b32_e32 v25, v27
	v_pk_fma_f32 v[20:21], v[56:57], 2.0, v[16:17] op_sel_hi:[1,0,1] neg_lo:[0,0,1] neg_hi:[0,0,1]
	v_pk_fma_f32 v[26:27], v[44:45], 2.0, v[22:23] op_sel_hi:[1,0,1] neg_lo:[0,0,1] neg_hi:[0,0,1]
	;; [unrolled: 1-line block ×3, first 2 shown]
	ds_write_b64 v130, v[6:7] offset:17600
	ds_write_b64 v130, v[32:33] offset:25600
	v_pk_add_f32 v[6:7], v[12:13], v[16:17] op_sel:[0,1] op_sel_hi:[1,0]
	v_pk_add_f32 v[10:11], v[12:13], v[16:17] op_sel:[0,1] op_sel_hi:[1,0] neg_lo:[0,1] neg_hi:[0,1]
	v_mov_b32_e32 v43, v41
	v_pk_add_f32 v[20:21], v[0:1], v[20:21] neg_lo:[0,1] neg_hi:[0,1]
	v_pk_add_f32 v[26:27], v[2:3], v[26:27] neg_lo:[0,1] neg_hi:[0,1]
	v_mov_b32_e32 v7, v11
	v_pk_fma_f32 v[0:1], v[0:1], 2.0, v[20:21] op_sel_hi:[1,0,1] neg_lo:[0,0,1] neg_hi:[0,0,1]
	v_pk_fma_f32 v[2:3], v[2:3], 2.0, v[26:27] op_sel_hi:[1,0,1] neg_lo:[0,0,1] neg_hi:[0,0,1]
	v_pk_add_f32 v[24:25], v[42:43], v[24:25] neg_lo:[0,1] neg_hi:[0,1]
	v_pk_fma_f32 v[10:11], v[12:13], 2.0, v[6:7] op_sel_hi:[1,0,1] neg_lo:[0,0,1] neg_hi:[0,0,1]
	v_pk_fma_f32 v[8:9], v[8:9], 2.0, v[28:29] op_sel_hi:[1,0,1] neg_lo:[0,0,1] neg_hi:[0,0,1]
	;; [unrolled: 1-line block ×3, first 2 shown]
	ds_write2_b64 v203, v[4:5], v[10:11] offset0:48 offset1:248
	ds_write2_b64 v205, v[0:1], v[2:3] offset0:16 offset1:216
	v_pk_add_f32 v[0:1], v[18:19], v[22:23] op_sel:[0,1] op_sel_hi:[1,0]
	v_pk_add_f32 v[2:3], v[18:19], v[22:23] op_sel:[0,1] op_sel_hi:[1,0] neg_lo:[0,1] neg_hi:[0,1]
	v_pk_add_f32 v[30:31], v[8:9], v[30:31] neg_lo:[0,1] neg_hi:[0,1]
	v_mov_b32_e32 v1, v3
	v_pk_fma_f32 v[8:9], v[8:9], 2.0, v[30:31] op_sel_hi:[1,0,1] neg_lo:[0,0,1] neg_hi:[0,0,1]
	v_pk_fma_f32 v[2:3], v[18:19], 2.0, v[0:1] op_sel_hi:[1,0,1] neg_lo:[0,0,1] neg_hi:[0,0,1]
	ds_write2_b64 v229, v[20:21], v[26:27] offset0:32 offset1:232
	ds_write2_b64 v15, v[6:7], v[0:1] offset0:8 offset1:208
	ds_write_b64 v130, v[8:9] offset:6400
	v_pk_add_f32 v[0:1], v[28:29], v[24:25] op_sel:[0,1] op_sel_hi:[1,0]
	v_pk_add_f32 v[4:5], v[28:29], v[24:25] op_sel:[0,1] op_sel_hi:[1,0] neg_lo:[0,1] neg_hi:[0,1]
	v_mov_b32_e32 v8, s0
	v_mov_b32_e32 v1, v5
	v_pk_fma_f32 v[4:5], v[28:29], 2.0, v[0:1] op_sel_hi:[1,0,1] neg_lo:[0,0,1] neg_hi:[0,0,1]
	ds_write2_b64 v191, v[2:3], v[4:5] offset1:200
	ds_write_b64 v130, v[30:31] offset:22400
	ds_write_b64 v130, v[0:1] offset:30400
	s_waitcnt lgkmcnt(0)
	s_barrier
	ds_read2_b64 v[0:3], v130 offset1:200
	v_mov_b32_e32 v9, s1
	s_mov_b32 s0, 0xd2f1a9fc
	s_mov_b32 s1, 0x3f30624d
	v_accvgpr_read_b32 v14, a0
	s_waitcnt lgkmcnt(0)
	v_mul_f32_e32 v4, v145, v1
	v_fmac_f32_e32 v4, v144, v0
	v_mul_f32_e32 v0, v145, v0
	v_fma_f32 v0, v144, v1, -v0
	v_cvt_f64_f32_e32 v[0:1], v0
	v_cvt_f64_f32_e32 v[4:5], v4
	v_mul_f64 v[0:1], v[0:1], s[0:1]
	v_mul_f64 v[4:5], v[4:5], s[0:1]
	v_cvt_f32_f64_e32 v11, v[0:1]
	v_mad_u64_u32 v[0:1], s[2:3], s4, v128, 0
	v_cvt_f32_f64_e32 v10, v[4:5]
	v_mov_b32_e32 v4, v1
	v_mad_u64_u32 v[12:13], s[2:3], s5, v128, v[4:5]
	ds_read2_b64 v[4:7], v205 offset0:16 offset1:216
	v_mov_b32_e32 v15, v140
	v_mov_b32_e32 v1, v12
	v_lshl_add_u64 v[8:9], v[14:15], 3, v[8:9]
	v_lshl_add_u64 v[0:1], v[0:1], 3, v[8:9]
	s_waitcnt lgkmcnt(0)
	v_mul_f32_e32 v8, v139, v5
	v_fmac_f32_e32 v8, v138, v4
	v_cvt_f64_f32_e32 v[8:9], v8
	v_mul_f64 v[8:9], v[8:9], s[0:1]
	global_store_dwordx2 v[0:1], v[10:11], off
	v_cvt_f32_f64_e32 v12, v[8:9]
	ds_read2_b64 v[8:11], v193 offset0:32 offset1:232
	v_mul_f32_e32 v4, v139, v4
	v_fma_f32 v4, v138, v5, -v4
	v_cvt_f64_f32_e32 v[4:5], v4
	v_mul_f64 v[4:5], v[4:5], s[0:1]
	v_cvt_f32_f64_e32 v13, v[4:5]
	s_waitcnt lgkmcnt(0)
	v_mul_f32_e32 v4, v137, v9
	v_mad_u64_u32 v[0:1], s[2:3], s4, v141, v[0:1]
	v_fmac_f32_e32 v4, v136, v8
	s_mul_i32 s2, s5, 0xc80
	v_cvt_f64_f32_e32 v[4:5], v4
	v_add_u32_e32 v1, s2, v1
	v_mul_f64 v[4:5], v[4:5], s[0:1]
	global_store_dwordx2 v[0:1], v[12:13], off
	v_cvt_f32_f64_e32 v4, v[4:5]
	v_mul_f32_e32 v5, v137, v8
	ds_read2_b64 v[12:15], v203 offset0:48 offset1:248
	v_fma_f32 v5, v136, v9, -v5
	v_cvt_f64_f32_e32 v[8:9], v5
	v_mul_f64 v[8:9], v[8:9], s[0:1]
	v_mad_u64_u32 v[0:1], s[6:7], s4, v141, v[0:1]
	v_cvt_f32_f64_e32 v5, v[8:9]
	v_add_u32_e32 v1, s2, v1
	global_store_dwordx2 v[0:1], v[4:5], off
	s_waitcnt lgkmcnt(0)
	v_mul_f32_e32 v4, v171, v13
	v_fmac_f32_e32 v4, v170, v12
	v_cvt_f64_f32_e32 v[4:5], v4
	v_mul_f64 v[4:5], v[4:5], s[0:1]
	v_cvt_f32_f64_e32 v4, v[4:5]
	v_mul_f32_e32 v5, v171, v12
	ds_read2_b64 v[16:19], v191 offset1:200
	v_fma_f32 v5, v170, v13, -v5
	v_cvt_f64_f32_e32 v[8:9], v5
	v_mul_f64 v[8:9], v[8:9], s[0:1]
	v_mad_u64_u32 v[0:1], s[6:7], s4, v141, v[0:1]
	v_cvt_f32_f64_e32 v5, v[8:9]
	v_add_u32_e32 v1, s2, v1
	global_store_dwordx2 v[0:1], v[4:5], off
	s_waitcnt lgkmcnt(0)
	v_mul_f32_e32 v4, v169, v17
	v_fmac_f32_e32 v4, v168, v16
	v_cvt_f64_f32_e32 v[4:5], v4
	v_mul_f64 v[4:5], v[4:5], s[0:1]
	v_cvt_f32_f64_e32 v4, v[4:5]
	v_mul_f32_e32 v5, v169, v16
	ds_read2_b64 v[20:23], v197 offset0:16 offset1:216
	v_fma_f32 v5, v168, v17, -v5
	v_cvt_f64_f32_e32 v[8:9], v5
	v_mul_f64 v[8:9], v[8:9], s[0:1]
	v_mad_u64_u32 v[0:1], s[6:7], s4, v141, v[0:1]
	v_cvt_f32_f64_e32 v5, v[8:9]
	v_add_u32_e32 v1, s2, v1
	global_store_dwordx2 v[0:1], v[4:5], off
	s_waitcnt lgkmcnt(0)
	v_mul_f32_e32 v4, v163, v21
	v_fmac_f32_e32 v4, v162, v20
	v_cvt_f64_f32_e32 v[4:5], v4
	v_mul_f64 v[4:5], v[4:5], s[0:1]
	v_cvt_f32_f64_e32 v4, v[4:5]
	v_mul_f32_e32 v5, v163, v20
	ds_read2_b64 v[24:27], v229 offset0:32 offset1:232
	;; [unrolled: 15-line block ×3, first 2 shown]
	v_fma_f32 v5, v158, v25, -v5
	v_cvt_f64_f32_e32 v[8:9], v5
	v_mul_f64 v[8:9], v[8:9], s[0:1]
	v_mad_u64_u32 v[0:1], s[6:7], s4, v141, v[0:1]
	v_cvt_f32_f64_e32 v5, v[8:9]
	v_add_u32_e32 v1, s2, v1
	global_store_dwordx2 v[0:1], v[4:5], off
	s_waitcnt lgkmcnt(0)
	v_mul_f32_e32 v4, v167, v29
	v_fmac_f32_e32 v4, v166, v28
	v_cvt_f64_f32_e32 v[4:5], v4
	v_mul_f64 v[4:5], v[4:5], s[0:1]
	v_cvt_f32_f64_e32 v4, v[4:5]
	v_mul_f32_e32 v5, v167, v28
	ds_read2_b64 v[32:35], v219 offset1:200
	v_fma_f32 v5, v166, v29, -v5
	v_cvt_f64_f32_e32 v[8:9], v5
	v_mul_f64 v[8:9], v[8:9], s[0:1]
	v_mad_u64_u32 v[0:1], s[6:7], s4, v141, v[0:1]
	v_cvt_f32_f64_e32 v5, v[8:9]
	v_add_u32_e32 v1, s2, v1
	global_store_dwordx2 v[0:1], v[4:5], off
	s_waitcnt lgkmcnt(0)
	v_mul_f32_e32 v4, v165, v33
	v_fmac_f32_e32 v4, v164, v32
	v_cvt_f64_f32_e32 v[4:5], v4
	v_mul_f64 v[4:5], v[4:5], s[0:1]
	v_cvt_f32_f64_e32 v4, v[4:5]
	v_mul_f32_e32 v5, v165, v32
	ds_read2_b64 v[36:39], v195 offset0:16 offset1:216
	v_fma_f32 v5, v164, v33, -v5
	v_cvt_f64_f32_e32 v[8:9], v5
	v_mul_f64 v[8:9], v[8:9], s[0:1]
	v_mad_u64_u32 v[0:1], s[6:7], s4, v141, v[0:1]
	v_cvt_f32_f64_e32 v5, v[8:9]
	v_add_u32_e32 v1, s2, v1
	global_store_dwordx2 v[0:1], v[4:5], off
	s_waitcnt lgkmcnt(0)
	v_mul_f32_e32 v4, v161, v37
	v_fmac_f32_e32 v4, v160, v36
	v_cvt_f64_f32_e32 v[4:5], v4
	v_mul_f64 v[4:5], v[4:5], s[0:1]
	v_cvt_f32_f64_e32 v4, v[4:5]
	v_mul_f32_e32 v5, v161, v36
	v_fma_f32 v5, v160, v37, -v5
	v_cvt_f64_f32_e32 v[8:9], v5
	v_mul_f64 v[8:9], v[8:9], s[0:1]
	v_mad_u64_u32 v[0:1], s[6:7], s4, v141, v[0:1]
	v_cvt_f32_f64_e32 v5, v[8:9]
	v_add_u32_e32 v1, s2, v1
	global_store_dwordx2 v[0:1], v[4:5], off
	v_mul_f32_e32 v4, v189, v3
	v_fmac_f32_e32 v4, v188, v2
	v_mul_f32_e32 v2, v189, v2
	v_fma_f32 v2, v188, v3, -v2
	v_cvt_f64_f32_e32 v[4:5], v4
	v_cvt_f64_f32_e32 v[2:3], v2
	v_mul_f64 v[4:5], v[4:5], s[0:1]
	v_mul_f64 v[2:3], v[2:3], s[0:1]
	v_cvt_f32_f64_e32 v4, v[4:5]
	v_cvt_f32_f64_e32 v5, v[2:3]
	v_mul_f32_e32 v2, v181, v7
	v_fmac_f32_e32 v2, v180, v6
	v_cvt_f64_f32_e32 v[2:3], v2
	s_mul_i32 s3, s5, 0xffff95c0
	v_mul_f64 v[2:3], v[2:3], s[0:1]
	v_mad_u64_u32 v[0:1], s[6:7], s4, v217, v[0:1]
	s_sub_i32 s3, s3, s4
	v_cvt_f32_f64_e32 v2, v[2:3]
	v_mul_f32_e32 v3, v181, v6
	v_add_u32_e32 v1, s3, v1
	v_fma_f32 v3, v180, v7, -v3
	global_store_dwordx2 v[0:1], v[4:5], off
	v_cvt_f64_f32_e32 v[4:5], v3
	v_mul_f64 v[4:5], v[4:5], s[0:1]
	v_mad_u64_u32 v[0:1], s[6:7], s4, v141, v[0:1]
	v_cvt_f32_f64_e32 v3, v[4:5]
	v_add_u32_e32 v1, s2, v1
	global_store_dwordx2 v[0:1], v[2:3], off
	v_mul_f32_e32 v2, v187, v11
	v_fmac_f32_e32 v2, v186, v10
	v_cvt_f64_f32_e32 v[2:3], v2
	v_mul_f64 v[2:3], v[2:3], s[0:1]
	v_cvt_f32_f64_e32 v2, v[2:3]
	v_mul_f32_e32 v3, v187, v10
	v_fma_f32 v3, v186, v11, -v3
	v_cvt_f64_f32_e32 v[4:5], v3
	v_mul_f64 v[4:5], v[4:5], s[0:1]
	v_mad_u64_u32 v[0:1], s[6:7], s4, v141, v[0:1]
	v_cvt_f32_f64_e32 v3, v[4:5]
	v_add_u32_e32 v1, s2, v1
	global_store_dwordx2 v[0:1], v[2:3], off
	v_mul_f32_e32 v2, v157, v15
	v_fmac_f32_e32 v2, v156, v14
	v_cvt_f64_f32_e32 v[2:3], v2
	v_mul_f64 v[2:3], v[2:3], s[0:1]
	v_cvt_f32_f64_e32 v2, v[2:3]
	v_mul_f32_e32 v3, v157, v14
	v_fma_f32 v3, v156, v15, -v3
	;; [unrolled: 13-line block ×8, first 2 shown]
	v_cvt_f64_f32_e32 v[4:5], v3
	v_mul_f64 v[4:5], v[4:5], s[0:1]
	v_mad_u64_u32 v[0:1], s[0:1], s4, v141, v[0:1]
	v_cvt_f32_f64_e32 v3, v[4:5]
	v_add_u32_e32 v1, s2, v1
	global_store_dwordx2 v[0:1], v[2:3], off
.LBB0_2:
	s_endpgm
	.section	.rodata,"a",@progbits
	.p2align	6, 0x0
	.amdhsa_kernel bluestein_single_fwd_len4000_dim1_sp_op_CI_CI
		.amdhsa_group_segment_fixed_size 32000
		.amdhsa_private_segment_fixed_size 0
		.amdhsa_kernarg_size 104
		.amdhsa_user_sgpr_count 2
		.amdhsa_user_sgpr_dispatch_ptr 0
		.amdhsa_user_sgpr_queue_ptr 0
		.amdhsa_user_sgpr_kernarg_segment_ptr 1
		.amdhsa_user_sgpr_dispatch_id 0
		.amdhsa_user_sgpr_kernarg_preload_length 0
		.amdhsa_user_sgpr_kernarg_preload_offset 0
		.amdhsa_user_sgpr_private_segment_size 0
		.amdhsa_uses_dynamic_stack 0
		.amdhsa_enable_private_segment 0
		.amdhsa_system_sgpr_workgroup_id_x 1
		.amdhsa_system_sgpr_workgroup_id_y 0
		.amdhsa_system_sgpr_workgroup_id_z 0
		.amdhsa_system_sgpr_workgroup_info 0
		.amdhsa_system_vgpr_workitem_id 0
		.amdhsa_next_free_vgpr 261
		.amdhsa_next_free_sgpr 25
		.amdhsa_accum_offset 256
		.amdhsa_reserve_vcc 1
		.amdhsa_float_round_mode_32 0
		.amdhsa_float_round_mode_16_64 0
		.amdhsa_float_denorm_mode_32 3
		.amdhsa_float_denorm_mode_16_64 3
		.amdhsa_dx10_clamp 1
		.amdhsa_ieee_mode 1
		.amdhsa_fp16_overflow 0
		.amdhsa_tg_split 0
		.amdhsa_exception_fp_ieee_invalid_op 0
		.amdhsa_exception_fp_denorm_src 0
		.amdhsa_exception_fp_ieee_div_zero 0
		.amdhsa_exception_fp_ieee_overflow 0
		.amdhsa_exception_fp_ieee_underflow 0
		.amdhsa_exception_fp_ieee_inexact 0
		.amdhsa_exception_int_div_zero 0
	.end_amdhsa_kernel
	.text
.Lfunc_end0:
	.size	bluestein_single_fwd_len4000_dim1_sp_op_CI_CI, .Lfunc_end0-bluestein_single_fwd_len4000_dim1_sp_op_CI_CI
                                        ; -- End function
	.section	.AMDGPU.csdata,"",@progbits
; Kernel info:
; codeLenInByte = 19932
; NumSgprs: 31
; NumVgprs: 256
; NumAgprs: 5
; TotalNumVgprs: 261
; ScratchSize: 0
; MemoryBound: 0
; FloatMode: 240
; IeeeMode: 1
; LDSByteSize: 32000 bytes/workgroup (compile time only)
; SGPRBlocks: 3
; VGPRBlocks: 32
; NumSGPRsForWavesPerEU: 31
; NumVGPRsForWavesPerEU: 261
; AccumOffset: 256
; Occupancy: 1
; WaveLimiterHint : 1
; COMPUTE_PGM_RSRC2:SCRATCH_EN: 0
; COMPUTE_PGM_RSRC2:USER_SGPR: 2
; COMPUTE_PGM_RSRC2:TRAP_HANDLER: 0
; COMPUTE_PGM_RSRC2:TGID_X_EN: 1
; COMPUTE_PGM_RSRC2:TGID_Y_EN: 0
; COMPUTE_PGM_RSRC2:TGID_Z_EN: 0
; COMPUTE_PGM_RSRC2:TIDIG_COMP_CNT: 0
; COMPUTE_PGM_RSRC3_GFX90A:ACCUM_OFFSET: 63
; COMPUTE_PGM_RSRC3_GFX90A:TG_SPLIT: 0
	.text
	.p2alignl 6, 3212836864
	.fill 256, 4, 3212836864
	.type	__hip_cuid_ee989ce35dc319d8,@object ; @__hip_cuid_ee989ce35dc319d8
	.section	.bss,"aw",@nobits
	.globl	__hip_cuid_ee989ce35dc319d8
__hip_cuid_ee989ce35dc319d8:
	.byte	0                               ; 0x0
	.size	__hip_cuid_ee989ce35dc319d8, 1

	.ident	"AMD clang version 19.0.0git (https://github.com/RadeonOpenCompute/llvm-project roc-6.4.0 25133 c7fe45cf4b819c5991fe208aaa96edf142730f1d)"
	.section	".note.GNU-stack","",@progbits
	.addrsig
	.addrsig_sym __hip_cuid_ee989ce35dc319d8
	.amdgpu_metadata
---
amdhsa.kernels:
  - .agpr_count:     5
    .args:
      - .actual_access:  read_only
        .address_space:  global
        .offset:         0
        .size:           8
        .value_kind:     global_buffer
      - .actual_access:  read_only
        .address_space:  global
        .offset:         8
        .size:           8
        .value_kind:     global_buffer
      - .actual_access:  read_only
        .address_space:  global
        .offset:         16
        .size:           8
        .value_kind:     global_buffer
      - .actual_access:  read_only
        .address_space:  global
        .offset:         24
        .size:           8
        .value_kind:     global_buffer
      - .actual_access:  read_only
        .address_space:  global
        .offset:         32
        .size:           8
        .value_kind:     global_buffer
      - .offset:         40
        .size:           8
        .value_kind:     by_value
      - .address_space:  global
        .offset:         48
        .size:           8
        .value_kind:     global_buffer
      - .address_space:  global
        .offset:         56
        .size:           8
        .value_kind:     global_buffer
      - .address_space:  global
        .offset:         64
        .size:           8
        .value_kind:     global_buffer
      - .address_space:  global
        .offset:         72
        .size:           8
        .value_kind:     global_buffer
      - .offset:         80
        .size:           4
        .value_kind:     by_value
      - .address_space:  global
        .offset:         88
        .size:           8
        .value_kind:     global_buffer
      - .address_space:  global
        .offset:         96
        .size:           8
        .value_kind:     global_buffer
    .group_segment_fixed_size: 32000
    .kernarg_segment_align: 8
    .kernarg_segment_size: 104
    .language:       OpenCL C
    .language_version:
      - 2
      - 0
    .max_flat_workgroup_size: 200
    .name:           bluestein_single_fwd_len4000_dim1_sp_op_CI_CI
    .private_segment_fixed_size: 0
    .sgpr_count:     31
    .sgpr_spill_count: 0
    .symbol:         bluestein_single_fwd_len4000_dim1_sp_op_CI_CI.kd
    .uniform_work_group_size: 1
    .uses_dynamic_stack: false
    .vgpr_count:     261
    .vgpr_spill_count: 0
    .wavefront_size: 64
amdhsa.target:   amdgcn-amd-amdhsa--gfx950
amdhsa.version:
  - 1
  - 2
...

	.end_amdgpu_metadata
